;; amdgpu-corpus repo=ROCm/aiter kind=harvested arch=n/a opt=n/a

/root/src/amdgpu-assembly/repos/ROCm__aiter/hsa/gfx942/fmoe_2stages/fmoe_stage1_bf16_pertokenFp8_blockscale_g1u1_112x128_pf2.co:	file format elf64-amdgpu

Disassembly of section .text:

0000000000002a00 <_ZN5aiter56fmoe_stage1_bf16_pertokenFp8_blockscale_g1u1_112x128_pf2E>:
	s_and_b32 s1, s1, 0xffff                                   // 000000002A00: 8601FF01 0000FFFF
	s_load_dwordx2 s[8:9], s[0:1], 0x0                         // 000000002A08: C0060200 00000000
	s_load_dwordx2 s[20:21], s[0:1], 0x10                      // 000000002A10: C0060500 00000010
	s_load_dwordx2 s[24:25], s[0:1], 0x20                      // 000000002A18: C0060600 00000020
	s_load_dwordx2 s[48:49], s[0:1], 0x30                      // 000000002A20: C0060C00 00000030
	s_load_dwordx2 s[28:29], s[0:1], 0x40                      // 000000002A28: C0060700 00000040
	s_load_dwordx2 s[32:33], s[0:1], 0x50                      // 000000002A30: C0060800 00000050
	s_load_dwordx2 s[36:37], s[0:1], 0x60                      // 000000002A38: C0060900 00000060
	s_load_dwordx2 s[12:13], s[0:1], 0x70                      // 000000002A40: C0060300 00000070
	s_load_dwordx2 s[44:45], s[0:1], 0x80                      // 000000002A48: C0060B00 00000080
	s_mov_b32 s89, 0                                           // 000000002A50: BED90080
	s_load_dword s64, s[0:1], 0x90                             // 000000002A54: C0021000 00000090
	s_load_dword s65, s[0:1], 0xa0                             // 000000002A5C: C0021040 000000A0
	s_load_dword s66, s[0:1], 0xb0                             // 000000002A64: C0021080 000000B0
	s_load_dword s67, s[0:1], 0xc0                             // 000000002A6C: C00210C0 000000C0
	s_load_dword s68, s[0:1], 0xd0                             // 000000002A74: C0021100 000000D0
	s_load_dword s69, s[0:1], 0xe0                             // 000000002A7C: C0021140 000000E0
	s_load_dword s71, s[0:1], 0xf0                             // 000000002A84: C00211C0 000000F0
	s_load_dword s72, s[0:1], 0x100                            // 000000002A8C: C0021200 00000100
	s_load_dword s74, s[0:1], 0x110                            // 000000002A94: C0021280 00000110
	s_load_dword s76, s[0:1], 0x120                            // 000000002A9C: C0021300 00000120
	s_load_dword s56, s[0:1], 0x130                            // 000000002AA4: C0020E00 00000130
	s_load_dword s88, s[0:1], 0x140                            // 000000002AAC: C0021600 00000140
	s_load_dword s89, s[0:1], 0x150                            // 000000002AB4: C0021640 00000150
	v_lshrrev_b32_e32 v1, 10, v0                               // 000000002ABC: 2002008A
	v_lshrrev_b32_e32 v2, 10, v1                               // 000000002AC0: 2004028A
	v_and_b32_e32 v2, 0x3ff, v2                                // 000000002AC4: 260404FF 000003FF
	v_and_b32_e32 v1, 0x3ff, v1                                // 000000002ACC: 260202FF 000003FF
	v_and_b32_e32 v0, 0x3ff, v0                                // 000000002AD4: 260000FF 000003FF
	v_lshrrev_b32_e32 v3, 6, v0                                // 000000002ADC: 20060086
	v_and_b32_e32 v0, 63, v0                                   // 000000002AE0: 260000BF
	s_mov_b32 s2, s2                                           // 000000002AE4: BE820002
	s_mov_b32 s3, s3                                           // 000000002AE8: BE830003
	s_mov_b32 s4, s4                                           // 000000002AEC: BE840004
	v_readfirstlane_b32 s7, v3                                 // 000000002AF0: 7E0E0503
	s_waitcnt lgkmcnt(0)                                       // 000000002AF4: BF8CC07F
	s_and_b32 s49, s49, 0xffff                                 // 000000002AF8: 8631FF31 0000FFFF
	s_load_dword s48, s[48:49], 0x0                            // 000000002B00: C0020C18 00000000
	s_and_b32 s45, s45, 0xffff                                 // 000000002B08: 862DFF2D 0000FFFF
	s_and_b32 s9, s9, 0xffff                                   // 000000002B10: 8609FF09 0000FFFF
	s_mul_i32 s60, s66, s68                                    // 000000002B18: 923C4442
	s_mul_i32 s61, s66, 4                                      // 000000002B1C: 923D8442
	s_mov_b32 s22, s60                                         // 000000002B20: BE96003C
	s_mov_b32 s26, -16                                         // 000000002B24: BE9A00D0
	s_mov_b32 s30, s61                                         // 000000002B28: BE9E003D
	s_mov_b32 s14, 0x1c0                                       // 000000002B2C: BE8E00FF 000001C0
	s_mov_b32 s38, -16                                         // 000000002B34: BEA600D0
	s_mov_b32 s10, -16                                         // 000000002B38: BE8A00D0
	s_lshr_b32 s60, s64, 7                                     // 000000002B3C: 8F3C8740
	s_mul_i32 s61, s60, 4                                      // 000000002B40: 923D843C
	s_lshr_b32 s60, s65, 7                                     // 000000002B44: 8F3C8741
	s_add_u32 s60, s60, 1                                      // 000000002B48: 803C813C
	s_mul_i32 s60, s60, s61                                    // 000000002B4C: 923C3D3C
	s_mov_b32 s34, s60                                         // 000000002B50: BEA2003C
	s_mov_b32 s23, 0x20000                                     // 000000002B54: BE9700FF 00020000
	s_mov_b32 s27, 0x20000                                     // 000000002B5C: BE9B00FF 00020000
	s_mov_b32 s31, 0x20000                                     // 000000002B64: BE9F00FF 00020000
	s_mov_b32 s35, 0x20000                                     // 000000002B6C: BEA300FF 00020000
	s_mov_b32 s15, 0x20000                                     // 000000002B74: BE8F00FF 00020000
	s_mov_b32 s39, 0x20000                                     // 000000002B7C: BEA700FF 00020000
	s_mov_b32 s11, 0x20000                                     // 000000002B84: BE8B00FF 00020000
	s_and_b32 s21, s21, 0xffff                                 // 000000002B8C: 8615FF15 0000FFFF
	s_and_b32 s25, s25, 0xffff                                 // 000000002B94: 8619FF19 0000FFFF
	s_and_b32 s29, s29, 0xffff                                 // 000000002B9C: 861DFF1D 0000FFFF
	s_and_b32 s33, s33, 0xffff                                 // 000000002BA4: 8621FF21 0000FFFF
	s_and_b32 s13, s13, 0xffff                                 // 000000002BAC: 860DFF0D 0000FFFF
	s_and_b32 s37, s37, 0xffff                                 // 000000002BB4: 8625FF25 0000FFFF
	s_or_b32 s21, s21, 0x40000                                 // 000000002BBC: 8715FF15 00040000
	s_or_b32 s25, s25, 0x40000                                 // 000000002BC4: 8719FF19 00040000
	s_or_b32 s29, s29, 0x40000                                 // 000000002BCC: 871DFF1D 00040000
	s_or_b32 s33, s33, 0x40000                                 // 000000002BD4: 8721FF21 00040000
	s_or_b32 s13, s13, 0x40000                                 // 000000002BDC: 870DFF0D 00040000
	s_or_b32 s37, s37, 0x40000                                 // 000000002BE4: 8725FF25 00040000
	v_accvgpr_write_b32 a143, 0                                // 000000002BEC: D3D9408F 18000080
	v_mov_b32_e32 v183, 0                                      // 000000002BF4: 7F6E0280
	s_waitcnt lgkmcnt(0)                                       // 000000002BF8: BF8CC07F
	s_mul_i32 s60, s3, 0x70                                    // 000000002BFC: 923CFF03 00000070
	s_cmp_lt_i32 s60, s48                                      // 000000002C04: BF04303C
	s_cbranch_scc0 label_2E60                                  // 000000002C08: BF842DDA
	s_mov_b32 s80, 0                                           // 000000002C0C: BED00080
	s_lshr_b32 s81, s64, s88                                   // 000000002C10: 8F515840
	s_mul_i32 s60, s3, 4                                       // 000000002C14: 923C8403
	s_add_u32 s44, s60, s44                                    // 000000002C18: 802C2C3C
	s_addc_u32 s45, 0, s45                                     // 000000002C1C: 822D2D80
	s_load_dword s5, s[44:45], 0x0                             // 000000002C20: C0020156 00000000
	s_mul_i32 s60, s3, 0x70                                    // 000000002C28: 923CFF03 00000070
	s_mul_i32 s60, 4, s60                                      // 000000002C30: 923C3C84
	s_add_u32 s12, s60, s12                                    // 000000002C34: 800C0C3C
	s_addc_u32 s13, 0, s13                                     // 000000002C38: 820D0D80
	v_and_b32_e32 v4, 15, v0                                   // 000000002C3C: 2608008F
	v_lshlrev_b32_e32 v4, 2, v4                                // 000000002C40: 24080882
	buffer_load_dword v28, v4, s[12:15], 0 offen               // 000000002C44: E0501000 80031C04
	v_add_u32_e32 v4, 64, v4                                   // 000000002C4C: 680808C0
	buffer_load_dword v29, v4, s[12:15], 0 offen               // 000000002C50: E0501000 80031D04
	v_add_u32_e32 v4, 64, v4                                   // 000000002C58: 680808C0
	buffer_load_dword v30, v4, s[12:15], 0 offen               // 000000002C5C: E0501000 80031E04
	v_add_u32_e32 v4, 64, v4                                   // 000000002C64: 680808C0
	buffer_load_dword v31, v4, s[12:15], 0 offen               // 000000002C68: E0501000 80031F04
	v_add_u32_e32 v4, 64, v4                                   // 000000002C70: 680808C0
	buffer_load_dword v32, v4, s[12:15], 0 offen               // 000000002C74: E0501000 80032004
	v_add_u32_e32 v4, 64, v4                                   // 000000002C7C: 680808C0
	buffer_load_dword v33, v4, s[12:15], 0 offen               // 000000002C80: E0501000 80032104
	v_add_u32_e32 v4, 64, v4                                   // 000000002C88: 680808C0
	buffer_load_dword v34, v4, s[12:15], 0 offen               // 000000002C8C: E0501000 80032204
	v_add_u32_e32 v4, 64, v4                                   // 000000002C94: 680808C0
	s_mul_i32 s60, 4, s7                                       // 000000002C98: 923C0784
	v_lshlrev_b32_e32 v4, 4, v0                                // 000000002C9C: 24080084
	v_add_u32_e32 v4, s60, v4                                  // 000000002CA0: 6808083C
	buffer_load_dword v3, v4, s[12:15], 0 offen                // 000000002CA4: E0501000 80030304
	v_mov_b32_e32 v72, 0                                       // 000000002CAC: 7E900280
	v_mov_b32_e32 v128, 0                                      // 000000002CB0: 7F000280
	v_mov_b32_e32 v73, 0                                       // 000000002CB4: 7E920280
	v_mov_b32_e32 v129, 0                                      // 000000002CB8: 7F020280
	v_mov_b32_e32 v74, 0                                       // 000000002CBC: 7E940280
	v_mov_b32_e32 v130, 0                                      // 000000002CC0: 7F040280
	v_mov_b32_e32 v75, 0                                       // 000000002CC4: 7E960280
	v_mov_b32_e32 v131, 0                                      // 000000002CC8: 7F060280
	v_mov_b32_e32 v76, 0                                       // 000000002CCC: 7E980280
	v_mov_b32_e32 v132, 0                                      // 000000002CD0: 7F080280
	v_mov_b32_e32 v77, 0                                       // 000000002CD4: 7E9A0280
	v_mov_b32_e32 v133, 0                                      // 000000002CD8: 7F0A0280
	v_mov_b32_e32 v78, 0                                       // 000000002CDC: 7E9C0280
	v_mov_b32_e32 v134, 0                                      // 000000002CE0: 7F0C0280
	v_mov_b32_e32 v79, 0                                       // 000000002CE4: 7E9E0280
	v_mov_b32_e32 v135, 0                                      // 000000002CE8: 7F0E0280
	v_mov_b32_e32 v80, 0                                       // 000000002CEC: 7EA00280
	v_mov_b32_e32 v136, 0                                      // 000000002CF0: 7F100280
	v_mov_b32_e32 v81, 0                                       // 000000002CF4: 7EA20280
	v_mov_b32_e32 v137, 0                                      // 000000002CF8: 7F120280
	v_mov_b32_e32 v82, 0                                       // 000000002CFC: 7EA40280
	v_mov_b32_e32 v138, 0                                      // 000000002D00: 7F140280
	v_mov_b32_e32 v83, 0                                       // 000000002D04: 7EA60280
	v_mov_b32_e32 v139, 0                                      // 000000002D08: 7F160280
	v_mov_b32_e32 v84, 0                                       // 000000002D0C: 7EA80280
	v_mov_b32_e32 v140, 0                                      // 000000002D10: 7F180280
	v_mov_b32_e32 v85, 0                                       // 000000002D14: 7EAA0280
	v_mov_b32_e32 v141, 0                                      // 000000002D18: 7F1A0280
	v_mov_b32_e32 v86, 0                                       // 000000002D1C: 7EAC0280
	v_mov_b32_e32 v142, 0                                      // 000000002D20: 7F1C0280
	v_mov_b32_e32 v87, 0                                       // 000000002D24: 7EAE0280
	v_mov_b32_e32 v143, 0                                      // 000000002D28: 7F1E0280
	v_mov_b32_e32 v88, 0                                       // 000000002D2C: 7EB00280
	v_mov_b32_e32 v144, 0                                      // 000000002D30: 7F200280
	v_mov_b32_e32 v89, 0                                       // 000000002D34: 7EB20280
	v_mov_b32_e32 v145, 0                                      // 000000002D38: 7F220280
	v_mov_b32_e32 v90, 0                                       // 000000002D3C: 7EB40280
	v_mov_b32_e32 v146, 0                                      // 000000002D40: 7F240280
	v_mov_b32_e32 v91, 0                                       // 000000002D44: 7EB60280
	v_mov_b32_e32 v147, 0                                      // 000000002D48: 7F260280
	v_mov_b32_e32 v92, 0                                       // 000000002D4C: 7EB80280
	v_mov_b32_e32 v148, 0                                      // 000000002D50: 7F280280
	v_mov_b32_e32 v93, 0                                       // 000000002D54: 7EBA0280
	v_mov_b32_e32 v149, 0                                      // 000000002D58: 7F2A0280
	v_mov_b32_e32 v94, 0                                       // 000000002D5C: 7EBC0280
	v_mov_b32_e32 v150, 0                                      // 000000002D60: 7F2C0280
	v_mov_b32_e32 v95, 0                                       // 000000002D64: 7EBE0280
	v_mov_b32_e32 v151, 0                                      // 000000002D68: 7F2E0280
	v_mov_b32_e32 v96, 0                                       // 000000002D6C: 7EC00280
	v_mov_b32_e32 v152, 0                                      // 000000002D70: 7F300280
	v_mov_b32_e32 v97, 0                                       // 000000002D74: 7EC20280
	v_mov_b32_e32 v153, 0                                      // 000000002D78: 7F320280
	v_mov_b32_e32 v98, 0                                       // 000000002D7C: 7EC40280
	v_mov_b32_e32 v154, 0                                      // 000000002D80: 7F340280
	v_mov_b32_e32 v99, 0                                       // 000000002D84: 7EC60280
	v_mov_b32_e32 v155, 0                                      // 000000002D88: 7F360280
	v_mov_b32_e32 v100, 0                                      // 000000002D8C: 7EC80280
	v_mov_b32_e32 v156, 0                                      // 000000002D90: 7F380280
	v_mov_b32_e32 v101, 0                                      // 000000002D94: 7ECA0280
	v_mov_b32_e32 v157, 0                                      // 000000002D98: 7F3A0280
	v_mov_b32_e32 v102, 0                                      // 000000002D9C: 7ECC0280
	v_mov_b32_e32 v158, 0                                      // 000000002DA0: 7F3C0280
	v_mov_b32_e32 v103, 0                                      // 000000002DA4: 7ECE0280
	v_mov_b32_e32 v159, 0                                      // 000000002DA8: 7F3E0280
	v_mov_b32_e32 v104, 0                                      // 000000002DAC: 7ED00280
	v_mov_b32_e32 v160, 0                                      // 000000002DB0: 7F400280
	v_mov_b32_e32 v105, 0                                      // 000000002DB4: 7ED20280
	v_mov_b32_e32 v161, 0                                      // 000000002DB8: 7F420280
	v_mov_b32_e32 v106, 0                                      // 000000002DBC: 7ED40280
	v_mov_b32_e32 v162, 0                                      // 000000002DC0: 7F440280
	v_mov_b32_e32 v107, 0                                      // 000000002DC4: 7ED60280
	v_mov_b32_e32 v163, 0                                      // 000000002DC8: 7F460280
	v_mov_b32_e32 v108, 0                                      // 000000002DCC: 7ED80280
	v_mov_b32_e32 v164, 0                                      // 000000002DD0: 7F480280
	v_mov_b32_e32 v109, 0                                      // 000000002DD4: 7EDA0280
	v_mov_b32_e32 v165, 0                                      // 000000002DD8: 7F4A0280
	v_mov_b32_e32 v110, 0                                      // 000000002DDC: 7EDC0280
	v_mov_b32_e32 v166, 0                                      // 000000002DE0: 7F4C0280
	v_mov_b32_e32 v111, 0                                      // 000000002DE4: 7EDE0280
	v_mov_b32_e32 v167, 0                                      // 000000002DE8: 7F4E0280
	v_mov_b32_e32 v112, 0                                      // 000000002DEC: 7EE00280
	v_mov_b32_e32 v168, 0                                      // 000000002DF0: 7F500280
	v_mov_b32_e32 v113, 0                                      // 000000002DF4: 7EE20280
	v_mov_b32_e32 v169, 0                                      // 000000002DF8: 7F520280
	v_mov_b32_e32 v114, 0                                      // 000000002DFC: 7EE40280
	v_mov_b32_e32 v170, 0                                      // 000000002E00: 7F540280
	v_mov_b32_e32 v115, 0                                      // 000000002E04: 7EE60280
	v_mov_b32_e32 v171, 0                                      // 000000002E08: 7F560280
	v_mov_b32_e32 v116, 0                                      // 000000002E0C: 7EE80280
	v_mov_b32_e32 v172, 0                                      // 000000002E10: 7F580280
	v_mov_b32_e32 v117, 0                                      // 000000002E14: 7EEA0280
	v_mov_b32_e32 v173, 0                                      // 000000002E18: 7F5A0280
	v_mov_b32_e32 v118, 0                                      // 000000002E1C: 7EEC0280
	v_mov_b32_e32 v174, 0                                      // 000000002E20: 7F5C0280
	v_mov_b32_e32 v119, 0                                      // 000000002E24: 7EEE0280
	v_mov_b32_e32 v175, 0                                      // 000000002E28: 7F5E0280
	v_mov_b32_e32 v120, 0                                      // 000000002E2C: 7EF00280
	v_mov_b32_e32 v176, 0                                      // 000000002E30: 7F600280
	v_mov_b32_e32 v121, 0                                      // 000000002E34: 7EF20280
	v_mov_b32_e32 v177, 0                                      // 000000002E38: 7F620280
	v_mov_b32_e32 v122, 0                                      // 000000002E3C: 7EF40280
	v_mov_b32_e32 v178, 0                                      // 000000002E40: 7F640280
	v_mov_b32_e32 v123, 0                                      // 000000002E44: 7EF60280
	v_mov_b32_e32 v179, 0                                      // 000000002E48: 7F660280
	v_mov_b32_e32 v124, 0                                      // 000000002E4C: 7EF80280
	v_mov_b32_e32 v180, 0                                      // 000000002E50: 7F680280
	v_mov_b32_e32 v125, 0                                      // 000000002E54: 7EFA0280
	v_mov_b32_e32 v181, 0                                      // 000000002E58: 7F6A0280
	v_mov_b32_e32 v126, 0                                      // 000000002E5C: 7EFC0280
	v_mov_b32_e32 v182, 0                                      // 000000002E60: 7F6C0280
	v_mov_b32_e32 v127, 0                                      // 000000002E64: 7EFE0280
	v_mov_b32_e32 v183, 0                                      // 000000002E68: 7F6E0280
	s_mul_i32 s60, s2, 0x80                                    // 000000002E6C: 923CFF02 00000080
	s_cmp_eq_u32 s88, 0                                        // 000000002E74: BF068058
	s_cselect_b32 s61, 1, 4                                    // 000000002E78: 853D8481
	s_mul_i32 s60, s60, s61                                    // 000000002E7C: 923C3D3C
	s_mov_b32 s90, s8                                          // 000000002E80: BEDA0008
	s_mov_b32 s91, s9                                          // 000000002E84: BEDB0009
	s_add_u32 s8, s60, s8                                      // 000000002E88: 8008083C
	s_addc_u32 s9, 0, s9                                       // 000000002E8C: 82090980
	v_lshrrev_b32_e32 v4, 4, v0                                // 000000002E90: 20080084
	v_mul_lo_u32 v20, 34, v4                                   // 000000002E94: D2850014 000208A2
	v_and_b32_e32 v4, 15, v0                                   // 000000002E9C: 2608008F
	v_mul_lo_u32 v5, 2, v4                                     // 000000002EA0: D2850005 00020882
	v_add_u32_e32 v20, v5, v20                                 // 000000002EA8: 68282905
	s_mul_i32 s60, s7, 0x88                                    // 000000002EAC: 923CFF07 00000088
	v_add_u32_e32 v20, s60, v20                                // 000000002EB4: 6828283C
	v_lshlrev_b32_e32 v20, 2, v20                              // 000000002EB8: 24282882
	v_and_b32_e32 v4, 31, v0                                   // 000000002EBC: 2608009F
	v_lshrrev_b32_e32 v4, 1, v4                                // 000000002EC0: 20080881
	v_mul_lo_u32 v21, 34, v4                                   // 000000002EC4: D2850015 000208A2
	v_lshrrev_b32_e32 v4, 5, v0                                // 000000002ECC: 20080085
	v_mul_lo_u32 v4, 8, v4                                     // 000000002ED0: D2850004 00020888
	v_add_u32_e32 v21, v21, v4                                 // 000000002ED8: 682A0915
	v_and_b32_e32 v5, 1, v0                                    // 000000002EDC: 260A0081
	v_add_u32_e32 v21, v5, v21                                 // 000000002EE0: 682A2B05
	s_mul_i32 s60, s7, 2                                       // 000000002EE4: 923C8207
	v_add_u32_e32 v21, s60, v21                                // 000000002EE8: 682A2A3C
	v_lshlrev_b32_e32 v21, 2, v21                              // 000000002EEC: 242A2A82
	s_mul_i32 s60, s7, 0xe20                                   // 000000002EF0: 923CFF07 00000E20
	s_add_u32 s48, 0, s60                                      // 000000002EF8: 80303C80
	s_add_u32 s49, 0x3880, s48                                 // 000000002EFC: 803130FF 00003880
	v_lshrrev_b32_e32 v4, 4, v0                                // 000000002F04: 20080084
	v_lshlrev_b32_e32 v5, 2, v4                                // 000000002F08: 240A0882
	v_and_b32_e32 v4, 15, v0                                   // 000000002F0C: 2608008F
	v_lshrrev_b32_e32 v6, 2, v4                                // 000000002F10: 200C0882
	v_lshlrev_b32_e32 v6, 5, v6                                // 000000002F14: 240C0C85
	v_add_u32_e32 v5, v6, v5                                   // 000000002F18: 680A0B06
	v_and_b32_e32 v4, 3, v0                                    // 000000002F1C: 26080083
	v_mul_u32_u24_e32 v6, 0x388, v4                            // 000000002F20: 100C08FF 00000388
	v_add_u32_e32 v5, v6, v5                                   // 000000002F28: 680A0B06
	v_lshlrev_b32_e32 v2, 2, v5                                // 000000002F2C: 24040A82
	s_waitcnt lgkmcnt(0)                                       // 000000002F30: BF8CC07F
	s_mul_i32 s60, s2, 0x80                                    // 000000002F34: 923CFF02 00000080
	s_mul_i32 s60, s60, s69                                    // 000000002F3C: 923C453C
	s_mul_i32 s61, s5, s72                                     // 000000002F40: 923D4805
	s_add_u32 s60, s61, s60                                    // 000000002F44: 803C3C3D
	s_add_u32 s24, s60, s24                                    // 000000002F48: 8018183C
	s_addc_u32 s25, 0, s25                                     // 000000002F4C: 82191980
	s_lshr_b32 s60, s64, s88                                   // 000000002F50: 8F3C5840
	s_mul_i32 s60, s4, s60                                     // 000000002F54: 923C3C04
	s_lshr_b32 s60, s60, 7                                     // 000000002F58: 8F3C873C
	s_mul_i32 s60, s60, 0x800                                  // 000000002F5C: 923CFF3C 00000800
	s_add_u32 s24, s60, s24                                    // 000000002F64: 8018183C
	s_addc_u32 s25, 0, s25                                     // 000000002F68: 82191980
	s_lshr_b32 s60, s69, s88                                   // 000000002F6C: 8F3C5845
	s_mul_i32 s60, s4, s60                                     // 000000002F70: 923C3C04
	s_add_u32 s20, s60, s20                                    // 000000002F74: 8014143C
	s_addc_u32 s21, 0, s21                                     // 000000002F78: 82151580
	s_mul_i32 s60, s7, 16                                      // 000000002F7C: 923C9007
	s_mul_i32 s60, s60, s69                                    // 000000002F80: 923C453C
	v_lshlrev_b32_e32 v70, 4, v0                               // 000000002F84: 248C0084
	v_add_u32_e32 v70, s60, v70                                // 000000002F88: 688C8C3C
	s_mul_i32 s60, 64, s69                                     // 000000002F8C: 923C45C0
	v_add_u32_e32 v71, s60, v70                                // 000000002F90: 688E8C3C
	s_mov_b32 s84, s24                                         // 000000002F94: BED40018
	s_mov_b32 s85, s25                                         // 000000002F98: BED50019
	s_mov_b32 s86, s26                                         // 000000002F9C: BED6001A
	s_mov_b32 s87, s27                                         // 000000002FA0: BED7001B
	s_mul_i32 s60, s69, s65                                    // 000000002FA4: 923C4145
	s_add_u32 s84, s60, s84                                    // 000000002FA8: 8054543C
	s_addc_u32 s85, 0, s85                                     // 000000002FAC: 82555580
	s_lshr_b32 s60, s64, 7                                     // 000000002FB0: 8F3C8740
	s_mul_i32 s61, s60, 4                                      // 000000002FB4: 923D843C
	v_and_b32_e32 v22, 15, v0                                  // 000000002FB8: 262C008F
	v_mul_lo_u32 v22, v22, s61                                 // 000000002FBC: D2850016 00007B16
	s_lshr_b32 s60, s65, 7                                     // 000000002FC4: 8F3C8741
	s_mul_i32 s60, s60, s61                                    // 000000002FC8: 923C3D3C
	v_add_u32_e64 v23, v22, s60                                // 000000002FCC: D1340017 00007916
	s_mul_i32 s60, s2, 1                                       // 000000002FD4: 923C8102
	s_mul_i32 s60, s60, s61                                    // 000000002FD8: 923C3D3C
	s_mul_i32 s61, s5, s74                                     // 000000002FDC: 923D4A05
	s_add_u32 s61, s61, s60                                    // 000000002FE0: 803D3C3D
	s_add_u32 s32, s61, s32                                    // 000000002FE4: 8020203D
	s_addc_u32 s33, 0, s33                                     // 000000002FE8: 82212180
	s_lshr_b32 s60, s64, 7                                     // 000000002FEC: 8F3C8740
	s_lshr_b32 s60, s60, s88                                   // 000000002FF0: 8F3C583C
	s_mul_i32 s60, s4, s60                                     // 000000002FF4: 923C3C04
	s_mul_i32 s61, s60, 4                                      // 000000002FF8: 923D843C
	s_add_u32 s32, s61, s32                                    // 000000002FFC: 8020203D
	s_addc_u32 s33, 0, s33                                     // 000000003000: 82212180
	s_lshl_b32 s62, s66, 2                                     // 000000003004: 8E3E8242
	s_mul_i32 s62, s60, s62                                    // 000000003008: 923E3E3C
	s_add_u32 s28, s62, s28                                    // 00000000300C: 801C1C3E
	s_addc_u32 s29, 0, s29                                     // 000000003010: 821D1D80
	s_mov_b32 s4, 4                                            // 000000003014: BE840084
	s_mov_b32 s57, 0x80                                        // 000000003018: BEB900FF 00000080
	s_mov_b32 s58, 0x800                                       // 000000003020: BEBA00FF 00000800
	s_mov_b32 s83, s58                                         // 000000003028: BED3003A
	s_mov_b32 s52, 0x7060302                                   // 00000000302C: BEB400FF 07060302
	s_mov_b32 s53, 0x400                                       // 000000003034: BEB500FF 00000400
	s_mov_b32 s54, 0x40100                                     // 00000000303C: BEB600FF 00040100
	s_mov_b32 s55, 0x4020100                                   // 000000003044: BEB700FF 04020100
	s_mov_b32 s6, 0x3fb8aa3b                                   // 00000000304C: BE8600FF 3FB8AA3B
	s_mov_b32 s78, 0xbd92220c                                  // 000000003054: BECE00FF BD92220C
	s_mov_b32 s79, 0xbd92220c                                  // 00000000305C: BECF00FF BD92220C
	s_mov_b32 m0, s48                                          // 000000003064: BEFC0030
	v_mov_b32_e32 v1, 0xbfcc4231                               // 000000003068: 7E0202FF BFCC4231
	v_mov_b32_e32 v17, 0xffff0000                              // 000000003070: 7E2202FF FFFF0000
	v_mov_b32_e32 v18, 0x7fff0000                              // 000000003078: 7E2402FF 7FFF0000
	v_mov_b32_e32 v19, 0x7fff                                  // 000000003080: 7E2602FF 00007FFF
	s_waitcnt vmcnt(0) expcnt(0) lgkmcnt(0)                    // 000000003088: BF8C0000
	v_lshrrev_b32_e32 v4, 5, v0                                // 00000000308C: 20080085
	v_xor_b32_e32 v5, 1, v4                                    // 000000003090: 2A0A0881
	v_readlane_b32 s82, v3, 0                                  // 000000003094: D2890052 00010103
	s_and_b32 s82, s82, 0xffffff                               // 00000000309C: 8652FF52 00FFFFFF
	v_mul_lo_u32 v6, v5, s82                                   // 0000000030A4: D2850006 0000A505
	v_readlane_b32 s82, v3, 1                                  // 0000000030AC: D2890052 00010303
	s_and_b32 s82, s82, 0xffffff                               // 0000000030B4: 8652FF52 00FFFFFF
	v_mul_lo_u32 v7, v4, s82                                   // 0000000030BC: D2850007 0000A504
	v_add_u32_e32 v56, v6, v7                                  // 0000000030C4: 68700F06
	v_mul_lo_u32 v56, v56, s68                                 // 0000000030C8: D2850038 00008938
	v_readlane_b32 s82, v3, 2                                  // 0000000030D0: D2890052 00010503
	s_and_b32 s82, s82, 0xffffff                               // 0000000030D8: 8652FF52 00FFFFFF
	v_mul_lo_u32 v6, v5, s82                                   // 0000000030E0: D2850006 0000A505
	v_readlane_b32 s82, v3, 3                                  // 0000000030E8: D2890052 00010703
	s_and_b32 s82, s82, 0xffffff                               // 0000000030F0: 8652FF52 00FFFFFF
	v_mul_lo_u32 v7, v4, s82                                   // 0000000030F8: D2850007 0000A504
	v_add_u32_e32 v57, v6, v7                                  // 000000003100: 68720F06
	v_mul_lo_u32 v57, v57, s68                                 // 000000003104: D2850039 00008939
	v_readlane_b32 s82, v3, 4                                  // 00000000310C: D2890052 00010903
	s_and_b32 s82, s82, 0xffffff                               // 000000003114: 8652FF52 00FFFFFF
	v_mul_lo_u32 v6, v5, s82                                   // 00000000311C: D2850006 0000A505
	v_readlane_b32 s82, v3, 5                                  // 000000003124: D2890052 00010B03
	s_and_b32 s82, s82, 0xffffff                               // 00000000312C: 8652FF52 00FFFFFF
	v_mul_lo_u32 v7, v4, s82                                   // 000000003134: D2850007 0000A504
	v_add_u32_e32 v58, v6, v7                                  // 00000000313C: 68740F06
	v_mul_lo_u32 v58, v58, s68                                 // 000000003140: D285003A 0000893A
	v_readlane_b32 s82, v3, 6                                  // 000000003148: D2890052 00010D03
	s_and_b32 s82, s82, 0xffffff                               // 000000003150: 8652FF52 00FFFFFF
	v_mul_lo_u32 v6, v5, s82                                   // 000000003158: D2850006 0000A505
	v_readlane_b32 s82, v3, 7                                  // 000000003160: D2890052 00010F03
	s_and_b32 s82, s82, 0xffffff                               // 000000003168: 8652FF52 00FFFFFF
	v_mul_lo_u32 v7, v4, s82                                   // 000000003170: D2850007 0000A504
	v_add_u32_e32 v59, v6, v7                                  // 000000003178: 68760F06
	v_mul_lo_u32 v59, v59, s68                                 // 00000000317C: D285003B 0000893B
	v_readlane_b32 s82, v3, 8                                  // 000000003184: D2890052 00011103
	s_and_b32 s82, s82, 0xffffff                               // 00000000318C: 8652FF52 00FFFFFF
	v_mul_lo_u32 v6, v5, s82                                   // 000000003194: D2850006 0000A505
	v_readlane_b32 s82, v3, 9                                  // 00000000319C: D2890052 00011303
	s_and_b32 s82, s82, 0xffffff                               // 0000000031A4: 8652FF52 00FFFFFF
	v_mul_lo_u32 v7, v4, s82                                   // 0000000031AC: D2850007 0000A504
	v_add_u32_e32 v60, v6, v7                                  // 0000000031B4: 68780F06
	v_mul_lo_u32 v60, v60, s68                                 // 0000000031B8: D285003C 0000893C
	v_readlane_b32 s82, v3, 10                                 // 0000000031C0: D2890052 00011503
	s_and_b32 s82, s82, 0xffffff                               // 0000000031C8: 8652FF52 00FFFFFF
	v_mul_lo_u32 v6, v5, s82                                   // 0000000031D0: D2850006 0000A505
	v_readlane_b32 s82, v3, 11                                 // 0000000031D8: D2890052 00011703
	s_and_b32 s82, s82, 0xffffff                               // 0000000031E0: 8652FF52 00FFFFFF
	v_mul_lo_u32 v7, v4, s82                                   // 0000000031E8: D2850007 0000A504
	v_add_u32_e32 v61, v6, v7                                  // 0000000031F0: 687A0F06
	v_mul_lo_u32 v61, v61, s68                                 // 0000000031F4: D285003D 0000893D
	v_readlane_b32 s82, v3, 12                                 // 0000000031FC: D2890052 00011903
	s_and_b32 s82, s82, 0xffffff                               // 000000003204: 8652FF52 00FFFFFF
	v_mul_lo_u32 v6, v5, s82                                   // 00000000320C: D2850006 0000A505
	v_readlane_b32 s82, v3, 13                                 // 000000003214: D2890052 00011B03
	s_and_b32 s82, s82, 0xffffff                               // 00000000321C: 8652FF52 00FFFFFF
	v_mul_lo_u32 v7, v4, s82                                   // 000000003224: D2850007 0000A504
	v_add_u32_e32 v62, v6, v7                                  // 00000000322C: 687C0F06
	v_mul_lo_u32 v62, v62, s68                                 // 000000003230: D285003E 0000893E
	v_readlane_b32 s82, v3, 14                                 // 000000003238: D2890052 00011D03
	s_and_b32 s82, s82, 0xffffff                               // 000000003240: 8652FF52 00FFFFFF
	v_mul_lo_u32 v6, v5, s82                                   // 000000003248: D2850006 0000A505
	v_readlane_b32 s82, v3, 15                                 // 000000003250: D2890052 00011F03
	s_and_b32 s82, s82, 0xffffff                               // 000000003258: 8652FF52 00FFFFFF
	v_mul_lo_u32 v7, v4, s82                                   // 000000003260: D2850007 0000A504
	v_add_u32_e32 v63, v6, v7                                  // 000000003268: 687E0F06
	v_mul_lo_u32 v63, v63, s68                                 // 00000000326C: D285003F 0000893F
	v_readlane_b32 s82, v3, 16                                 // 000000003274: D2890052 00012103
	s_and_b32 s82, s82, 0xffffff                               // 00000000327C: 8652FF52 00FFFFFF
	v_mul_lo_u32 v6, v5, s82                                   // 000000003284: D2850006 0000A505
	v_readlane_b32 s82, v3, 17                                 // 00000000328C: D2890052 00012303
	s_and_b32 s82, s82, 0xffffff                               // 000000003294: 8652FF52 00FFFFFF
	v_mul_lo_u32 v7, v4, s82                                   // 00000000329C: D2850007 0000A504
	v_add_u32_e32 v64, v6, v7                                  // 0000000032A4: 68800F06
	v_mul_lo_u32 v64, v64, s68                                 // 0000000032A8: D2850040 00008940
	v_readlane_b32 s82, v3, 18                                 // 0000000032B0: D2890052 00012503
	s_and_b32 s82, s82, 0xffffff                               // 0000000032B8: 8652FF52 00FFFFFF
	v_mul_lo_u32 v6, v5, s82                                   // 0000000032C0: D2850006 0000A505
	v_readlane_b32 s82, v3, 19                                 // 0000000032C8: D2890052 00012703
	s_and_b32 s82, s82, 0xffffff                               // 0000000032D0: 8652FF52 00FFFFFF
	v_mul_lo_u32 v7, v4, s82                                   // 0000000032D8: D2850007 0000A504
	v_add_u32_e32 v65, v6, v7                                  // 0000000032E0: 68820F06
	v_mul_lo_u32 v65, v65, s68                                 // 0000000032E4: D2850041 00008941
	v_readlane_b32 s82, v3, 20                                 // 0000000032EC: D2890052 00012903
	s_and_b32 s82, s82, 0xffffff                               // 0000000032F4: 8652FF52 00FFFFFF
	v_mul_lo_u32 v6, v5, s82                                   // 0000000032FC: D2850006 0000A505
	v_readlane_b32 s82, v3, 21                                 // 000000003304: D2890052 00012B03
	s_and_b32 s82, s82, 0xffffff                               // 00000000330C: 8652FF52 00FFFFFF
	v_mul_lo_u32 v7, v4, s82                                   // 000000003314: D2850007 0000A504
	v_add_u32_e32 v66, v6, v7                                  // 00000000331C: 68840F06
	v_mul_lo_u32 v66, v66, s68                                 // 000000003320: D2850042 00008942
	v_readlane_b32 s82, v3, 22                                 // 000000003328: D2890052 00012D03
	s_and_b32 s82, s82, 0xffffff                               // 000000003330: 8652FF52 00FFFFFF
	v_mul_lo_u32 v6, v5, s82                                   // 000000003338: D2850006 0000A505
	v_readlane_b32 s82, v3, 23                                 // 000000003340: D2890052 00012F03
	s_and_b32 s82, s82, 0xffffff                               // 000000003348: 8652FF52 00FFFFFF
	v_mul_lo_u32 v7, v4, s82                                   // 000000003350: D2850007 0000A504
	v_add_u32_e32 v67, v6, v7                                  // 000000003358: 68860F06
	v_mul_lo_u32 v67, v67, s68                                 // 00000000335C: D2850043 00008943
	v_readlane_b32 s82, v3, 24                                 // 000000003364: D2890052 00013103
	s_and_b32 s82, s82, 0xffffff                               // 00000000336C: 8652FF52 00FFFFFF
	v_mul_lo_u32 v6, v5, s82                                   // 000000003374: D2850006 0000A505
	v_readlane_b32 s82, v3, 25                                 // 00000000337C: D2890052 00013303
	s_and_b32 s82, s82, 0xffffff                               // 000000003384: 8652FF52 00FFFFFF
	v_mul_lo_u32 v7, v4, s82                                   // 00000000338C: D2850007 0000A504
	v_add_u32_e32 v68, v6, v7                                  // 000000003394: 68880F06
	v_mul_lo_u32 v68, v68, s68                                 // 000000003398: D2850044 00008944
	v_readlane_b32 s82, v3, 26                                 // 0000000033A0: D2890052 00013503
	s_and_b32 s82, s82, 0xffffff                               // 0000000033A8: 8652FF52 00FFFFFF
	v_mul_lo_u32 v6, v5, s82                                   // 0000000033B0: D2850006 0000A505
	v_readlane_b32 s82, v3, 27                                 // 0000000033B8: D2890052 00013703
	s_and_b32 s82, s82, 0xffffff                               // 0000000033C0: 8652FF52 00FFFFFF
	v_mul_lo_u32 v7, v4, s82                                   // 0000000033C8: D2850007 0000A504
	v_add_u32_e32 v69, v6, v7                                  // 0000000033D0: 688A0F06
	v_mul_lo_u32 v69, v69, s68                                 // 0000000033D4: D2850045 00008945
	v_and_b32_e32 v4, 31, v0                                   // 0000000033DC: 2608009F
	v_lshlrev_b32_e32 v4, 2, v4                                // 0000000033E0: 24080882
	v_add_u32_e32 v56, v56, v4                                 // 0000000033E4: 68700938
	v_add_u32_e32 v57, v57, v4                                 // 0000000033E8: 68720939
	v_add_u32_e32 v58, v58, v4                                 // 0000000033EC: 6874093A
	v_add_u32_e32 v59, v59, v4                                 // 0000000033F0: 6876093B
	v_add_u32_e32 v60, v60, v4                                 // 0000000033F4: 6878093C
	v_add_u32_e32 v61, v61, v4                                 // 0000000033F8: 687A093D
	v_add_u32_e32 v62, v62, v4                                 // 0000000033FC: 687C093E
	v_add_u32_e32 v63, v63, v4                                 // 000000003400: 687E093F
	v_add_u32_e32 v64, v64, v4                                 // 000000003404: 68800940
	v_add_u32_e32 v65, v65, v4                                 // 000000003408: 68820941
	v_add_u32_e32 v66, v66, v4                                 // 00000000340C: 68840942
	v_add_u32_e32 v67, v67, v4                                 // 000000003410: 68860943
	v_add_u32_e32 v68, v68, v4                                 // 000000003414: 68880944
	v_add_u32_e32 v69, v69, v4                                 // 000000003418: 688A0945
	v_and_b32_e32 v28, 0xffffff, v28                           // 00000000341C: 263838FF 00FFFFFF
	v_lshlrev_b32_e32 v28, 2, v28                              // 000000003424: 24383882
	v_and_b32_e32 v29, 0xffffff, v29                           // 000000003428: 263A3AFF 00FFFFFF
	v_lshlrev_b32_e32 v29, 2, v29                              // 000000003430: 243A3A82
	v_and_b32_e32 v30, 0xffffff, v30                           // 000000003434: 263C3CFF 00FFFFFF
	v_lshlrev_b32_e32 v30, 2, v30                              // 00000000343C: 243C3C82
	v_and_b32_e32 v31, 0xffffff, v31                           // 000000003440: 263E3EFF 00FFFFFF
	v_lshlrev_b32_e32 v31, 2, v31                              // 000000003448: 243E3E82
	v_and_b32_e32 v32, 0xffffff, v32                           // 00000000344C: 264040FF 00FFFFFF
	v_lshlrev_b32_e32 v32, 2, v32                              // 000000003454: 24404082
	v_and_b32_e32 v33, 0xffffff, v33                           // 000000003458: 264242FF 00FFFFFF
	v_lshlrev_b32_e32 v33, 2, v33                              // 000000003460: 24424282
	v_and_b32_e32 v34, 0xffffff, v34                           // 000000003464: 264444FF 00FFFFFF
	v_lshlrev_b32_e32 v34, 2, v34                              // 00000000346C: 24444482
	s_lshl_b32 s3, s66, 2                                      // 000000003470: 8E038242
	buffer_load_dword v56, s[20:23], 0 offen lds               // 000000003474: E0511000 80050038
	s_add_u32 m0, 0x100, s48                                   // 00000000347C: 807C30FF 00000100
	buffer_load_dword v57, s[20:23], 0 offen lds               // 000000003484: E0511000 80050039
	s_add_u32 m0, 0x200, s48                                   // 00000000348C: 807C30FF 00000200
	buffer_load_dword v58, s[20:23], 0 offen lds               // 000000003494: E0511000 8005003A
	s_add_u32 m0, 0x300, s48                                   // 00000000349C: 807C30FF 00000300
	buffer_load_dword v59, s[20:23], 0 offen lds               // 0000000034A4: E0511000 8005003B
	s_add_u32 m0, 0x400, s48                                   // 0000000034AC: 807C30FF 00000400
	buffer_load_dword v60, s[20:23], 0 offen lds               // 0000000034B4: E0511000 8005003C
	s_add_u32 m0, 0x500, s48                                   // 0000000034BC: 807C30FF 00000500
	buffer_load_dword v61, s[20:23], 0 offen lds               // 0000000034C4: E0511000 8005003D
	s_add_u32 m0, 0x600, s48                                   // 0000000034CC: 807C30FF 00000600
	buffer_load_dword v62, s[20:23], 0 offen lds               // 0000000034D4: E0511000 8005003E
	s_add_u32 m0, 0x700, s48                                   // 0000000034DC: 807C30FF 00000700
	buffer_load_dword v63, s[20:23], 0 offen lds               // 0000000034E4: E0511000 8005003F
	s_add_u32 m0, 0x800, s48                                   // 0000000034EC: 807C30FF 00000800
	buffer_load_dword v64, s[20:23], 0 offen lds               // 0000000034F4: E0511000 80050040
	s_add_u32 m0, 0x900, s48                                   // 0000000034FC: 807C30FF 00000900
	buffer_load_dword v65, s[20:23], 0 offen lds               // 000000003504: E0511000 80050041
	s_add_u32 m0, 0xa00, s48                                   // 00000000350C: 807C30FF 00000A00
	buffer_load_dword v66, s[20:23], 0 offen lds               // 000000003514: E0511000 80050042
	s_add_u32 m0, 0xb00, s48                                   // 00000000351C: 807C30FF 00000B00
	buffer_load_dword v67, s[20:23], 0 offen lds               // 000000003524: E0511000 80050043
	s_add_u32 m0, 0xc00, s48                                   // 00000000352C: 807C30FF 00000C00
	buffer_load_dword v68, s[20:23], 0 offen lds               // 000000003534: E0511000 80050044
	s_add_u32 m0, 0xd00, s48                                   // 00000000353C: 807C30FF 00000D00
	buffer_load_dword v69, s[20:23], 0 offen lds               // 000000003544: E0511000 80050045
	s_add_u32 m0, 0, s49                                       // 00000000354C: 807C3180
	s_add_u32 s20, s57, s20                                    // 000000003550: 80141439
	s_addc_u32 s21, 0, s21                                     // 000000003554: 82151580
	buffer_load_dword v35, v28, s[28:31], 0 offen              // 000000003558: E0501000 8007231C
	buffer_load_dword v36, v29, s[28:31], 0 offen              // 000000003560: E0501000 8007241D
	buffer_load_dword v37, v30, s[28:31], 0 offen              // 000000003568: E0501000 8007251E
	buffer_load_dword v38, v31, s[28:31], 0 offen              // 000000003570: E0501000 8007261F
	buffer_load_dword v39, v32, s[28:31], 0 offen              // 000000003578: E0501000 80072720
	buffer_load_dword v40, v33, s[28:31], 0 offen              // 000000003580: E0501000 80072821
	;; [unrolled: 1-line block ×3, first 2 shown]
	s_add_u32 s28, s3, s28                                     // 000000003590: 801C1C03
	s_addc_u32 s29, 0, s29                                     // 000000003594: 821D1D80
	buffer_load_dword v56, s[20:23], 0 offen lds               // 000000003598: E0511000 80050038
	s_add_u32 m0, 0x100, s49                                   // 0000000035A0: 807C31FF 00000100
	buffer_load_dword v57, s[20:23], 0 offen lds               // 0000000035A8: E0511000 80050039
	s_add_u32 m0, 0x200, s49                                   // 0000000035B0: 807C31FF 00000200
	buffer_load_dword v58, s[20:23], 0 offen lds               // 0000000035B8: E0511000 8005003A
	s_add_u32 m0, 0x300, s49                                   // 0000000035C0: 807C31FF 00000300
	buffer_load_dword v59, s[20:23], 0 offen lds               // 0000000035C8: E0511000 8005003B
	s_add_u32 m0, 0x400, s49                                   // 0000000035D0: 807C31FF 00000400
	buffer_load_dword v60, s[20:23], 0 offen lds               // 0000000035D8: E0511000 8005003C
	s_add_u32 m0, 0x500, s49                                   // 0000000035E0: 807C31FF 00000500
	buffer_load_dword v61, s[20:23], 0 offen lds               // 0000000035E8: E0511000 8005003D
	s_add_u32 m0, 0x600, s49                                   // 0000000035F0: 807C31FF 00000600
	buffer_load_dword v62, s[20:23], 0 offen lds               // 0000000035F8: E0511000 8005003E
	s_add_u32 m0, 0x700, s49                                   // 000000003600: 807C31FF 00000700
	buffer_load_dword v63, s[20:23], 0 offen lds               // 000000003608: E0511000 8005003F
	s_add_u32 m0, 0x800, s49                                   // 000000003610: 807C31FF 00000800
	buffer_load_dword v64, s[20:23], 0 offen lds               // 000000003618: E0511000 80050040
	s_add_u32 m0, 0x900, s49                                   // 000000003620: 807C31FF 00000900
	buffer_load_dword v65, s[20:23], 0 offen lds               // 000000003628: E0511000 80050041
	s_add_u32 m0, 0xa00, s49                                   // 000000003630: 807C31FF 00000A00
	buffer_load_dword v66, s[20:23], 0 offen lds               // 000000003638: E0511000 80050042
	s_add_u32 m0, 0xb00, s49                                   // 000000003640: 807C31FF 00000B00
	buffer_load_dword v67, s[20:23], 0 offen lds               // 000000003648: E0511000 80050043
	s_add_u32 m0, 0xc00, s49                                   // 000000003650: 807C31FF 00000C00
	buffer_load_dword v68, s[20:23], 0 offen lds               // 000000003658: E0511000 80050044
	s_add_u32 m0, 0xd00, s49                                   // 000000003660: 807C31FF 00000D00
	buffer_load_dword v69, s[20:23], 0 offen lds               // 000000003668: E0511000 80050045
	s_add_u32 m0, 0, s48                                       // 000000003670: 807C3080
	s_add_u32 s20, s57, s20                                    // 000000003674: 80141439
	s_addc_u32 s21, 0, s21                                     // 000000003678: 82151580
	buffer_load_dword v42, v28, s[28:31], 0 offen              // 00000000367C: E0501000 80072A1C
	buffer_load_dword v43, v29, s[28:31], 0 offen              // 000000003684: E0501000 80072B1D
	buffer_load_dword v44, v30, s[28:31], 0 offen              // 00000000368C: E0501000 80072C1E
	buffer_load_dword v45, v31, s[28:31], 0 offen              // 000000003694: E0501000 80072D1F
	buffer_load_dword v46, v32, s[28:31], 0 offen              // 00000000369C: E0501000 80072E20
	buffer_load_dword v47, v33, s[28:31], 0 offen              // 0000000036A4: E0501000 80072F21
	buffer_load_dword v48, v34, s[28:31], 0 offen              // 0000000036AC: E0501000 80073022
	s_add_u32 s28, s3, s28                                     // 0000000036B4: 801C1C03
	s_addc_u32 s29, 0, s29                                     // 0000000036B8: 821D1D80
	buffer_load_dword v24, v22, s[32:35], 0 offen              // 0000000036BC: E0501000 80081816
	buffer_load_dwordx4 a[112:115], v70, s[24:27], 0 offen     // 0000000036C4: E05C1000 80867046
	buffer_load_dwordx4 a[116:119], v70, s[24:27], 0 offen offset:1024// 0000000036CC: E05C1400 80867446
	buffer_load_dwordx4 a[120:123], v71, s[24:27], 0 offen     // 0000000036D4: E05C1000 80867847
	buffer_load_dwordx4 a[124:127], v71, s[24:27], 0 offen offset:1024// 0000000036DC: E05C1400 80867C47
	s_add_u32 s24, s58, s24                                    // 0000000036E4: 8018183A
	s_addc_u32 s25, 0, s25                                     // 0000000036E8: 82191980
	s_waitcnt vmcnt(33)                                        // 0000000036EC: BF8C8F71
	s_barrier                                                  // 0000000036F0: BF8A0000
	ds_read_b128 a[0:3], v2                                    // 0000000036F4: DBFE0000 00000002
	ds_read_b128 a[4:7], v2 offset:64                          // 0000000036FC: DBFE0040 04000002
	ds_read_b128 a[8:11], v2 offset:512                        // 000000003704: DBFE0200 08000002
	ds_read_b128 a[12:15], v2 offset:576                       // 00000000370C: DBFE0240 0C000002
	ds_read_b128 a[16:19], v2 offset:1024                      // 000000003714: DBFE0400 10000002
	ds_read_b128 a[20:23], v2 offset:1088                      // 00000000371C: DBFE0440 14000002
	ds_read_b128 a[24:27], v2 offset:1536                      // 000000003724: DBFE0600 18000002
	ds_read_b128 a[28:31], v2 offset:1600                      // 00000000372C: DBFE0640 1C000002
	ds_read_b128 a[32:35], v2 offset:2048                      // 000000003734: DBFE0800 20000002
	ds_read_b128 a[36:39], v2 offset:2112                      // 00000000373C: DBFE0840 24000002
	ds_read_b128 a[40:43], v2 offset:2560                      // 000000003744: DBFE0A00 28000002
	ds_read_b128 a[44:47], v2 offset:2624                      // 00000000374C: DBFE0A40 2C000002
	ds_read_b128 a[48:51], v2 offset:3072                      // 000000003754: DBFE0C00 30000002
	ds_read_b128 a[52:55], v2 offset:3136                      // 00000000375C: DBFE0C40 34000002
	s_cmp_lt_i32 s7, 2                                         // 000000003764: BF048207
	s_cbranch_scc0 label_18DF                                  // 000000003768: BF841581

000000000000376c <label_035B>:
	s_waitcnt vmcnt(2) lgkmcnt(0)                              // 00000000376C: BF8C0072
	s_barrier                                                  // 000000003770: BF8A0000
	v_mov_b32_e32 v49, v35                                     // 000000003774: 7E620323
	v_mov_b32_e32 v50, v36                                     // 000000003778: 7E640324
	v_mov_b32_e32 v51, v37                                     // 00000000377C: 7E660325
	v_mov_b32_e32 v52, v38                                     // 000000003780: 7E680326
	v_mov_b32_e32 v53, v39                                     // 000000003784: 7E6A0327
	v_mov_b32_e32 v54, v40                                     // 000000003788: 7E6C0328
	v_mov_b32_e32 v55, v41                                     // 00000000378C: 7E6E0329
	v_mul_f32_dpp v4, v24, v49 row_newbcast:0 row_mask:0xf bank_mask:0xf// 000000003790: 0A0862FA FF015018
	v_mfma_f32_16x16x32_fp8_fp8 v[8:11], a[112:113], a[0:1], 0 // 000000003798: D3F30008 1A020170
	buffer_load_dword v27, v23, s[32:35], 0 offen              // 0000000037A0: E0501000 80081B17
	v_mfma_f32_16x16x32_fp8_fp8 v[8:11], a[114:115], a[2:3], v[8:11]// 0000000037A8: D3F30008 1C220572
	buffer_load_dwordx4 a[128:131], v70, s[84:87], 0 offen     // 0000000037B0: E05C1000 80958046
	v_mfma_f32_16x16x32_fp8_fp8 v[8:11], a[116:117], a[4:5], v[8:11]// 0000000037B8: D3F30008 1C220974
	v_mfma_f32_16x16x32_fp8_fp8 v[8:11], a[118:119], a[6:7], v[8:11]// 0000000037C0: D3F30008 1C220D76
	v_mul_f32_dpp v6, v24, v50 row_newbcast:0 row_mask:0xf bank_mask:0xf// 0000000037C8: 0A0C64FA FF015018
	v_mfma_f32_16x16x32_fp8_fp8 v[12:15], a[112:113], a[8:9], 0// 0000000037D0: D3F3000C 1A021170
	v_mfma_f32_16x16x32_fp8_fp8 v[12:15], a[114:115], a[10:11], v[12:15]// 0000000037D8: D3F3000C 1C321572
	buffer_load_dwordx4 a[132:135], v70, s[84:87], 0 offen offset:1024// 0000000037E0: E05C1400 80958446
	v_mfma_f32_16x16x32_fp8_fp8 v[12:15], a[116:117], a[12:13], v[12:15]// 0000000037E8: D3F3000C 1C321974
	v_mfma_f32_16x16x32_fp8_fp8 v[12:15], a[118:119], a[14:15], v[12:15]// 0000000037F0: D3F3000C 1C321D76
	v_fma_f32 v72, v8, v4, v72                                 // 0000000037F8: D1CB0048 05220908
	v_fma_f32 v73, v9, v4, v73                                 // 000000003800: D1CB0049 05260909
	v_fma_f32 v74, v10, v4, v74                                // 000000003808: D1CB004A 052A090A
	v_fma_f32 v75, v11, v4, v75                                // 000000003810: D1CB004B 052E090B
	v_mul_f32_dpp v4, v24, v51 row_newbcast:0 row_mask:0xf bank_mask:0xf// 000000003818: 0A0866FA FF015018
	v_mfma_f32_16x16x32_fp8_fp8 v[8:11], a[112:113], a[16:17], 0// 000000003820: D3F30008 1A022170
	v_mfma_f32_16x16x32_fp8_fp8 v[8:11], a[114:115], a[18:19], v[8:11]// 000000003828: D3F30008 1C222572
	buffer_load_dwordx4 a[136:139], v71, s[84:87], 0 offen     // 000000003830: E05C1000 80958847
	v_mfma_f32_16x16x32_fp8_fp8 v[8:11], a[116:117], a[20:21], v[8:11]// 000000003838: D3F30008 1C222974
	v_mfma_f32_16x16x32_fp8_fp8 v[8:11], a[118:119], a[22:23], v[8:11]// 000000003840: D3F30008 1C222D76
	v_fma_f32 v76, v12, v6, v76                                // 000000003848: D1CB004C 05320D0C
	v_fma_f32 v77, v13, v6, v77                                // 000000003850: D1CB004D 05360D0D
	v_fma_f32 v78, v14, v6, v78                                // 000000003858: D1CB004E 053A0D0E
	v_fma_f32 v79, v15, v6, v79                                // 000000003860: D1CB004F 053E0D0F
	v_mul_f32_dpp v6, v24, v52 row_newbcast:0 row_mask:0xf bank_mask:0xf// 000000003868: 0A0C68FA FF015018
	v_mfma_f32_16x16x32_fp8_fp8 v[12:15], a[112:113], a[24:25], 0// 000000003870: D3F3000C 1A023170
	v_mfma_f32_16x16x32_fp8_fp8 v[12:15], a[114:115], a[26:27], v[12:15]// 000000003878: D3F3000C 1C323572
	buffer_load_dwordx4 a[140:143], v71, s[84:87], 0 offen offset:1024// 000000003880: E05C1400 80958C47
	buffer_load_dword v56, s[20:23], 0 offen lds               // 000000003888: E0511000 80050038
	s_add_u32 m0, 0x100, s48                                   // 000000003890: 807C30FF 00000100
	v_mfma_f32_16x16x32_fp8_fp8 v[12:15], a[116:117], a[28:29], v[12:15]// 000000003898: D3F3000C 1C323974
	v_mfma_f32_16x16x32_fp8_fp8 v[12:15], a[118:119], a[30:31], v[12:15]// 0000000038A0: D3F3000C 1C323D76
	buffer_load_dword v57, s[20:23], 0 offen lds               // 0000000038A8: E0511000 80050039
	s_add_u32 m0, 0x200, s48                                   // 0000000038B0: 807C30FF 00000200
	v_fma_f32 v80, v8, v4, v80                                 // 0000000038B8: D1CB0050 05420908
	v_fma_f32 v81, v9, v4, v81                                 // 0000000038C0: D1CB0051 05460909
	v_fma_f32 v82, v10, v4, v82                                // 0000000038C8: D1CB0052 054A090A
	v_fma_f32 v83, v11, v4, v83                                // 0000000038D0: D1CB0053 054E090B
	v_mul_f32_dpp v4, v24, v53 row_newbcast:0 row_mask:0xf bank_mask:0xf// 0000000038D8: 0A086AFA FF015018
	v_mfma_f32_16x16x32_fp8_fp8 v[8:11], a[112:113], a[32:33], 0// 0000000038E0: D3F30008 1A024170
	v_mfma_f32_16x16x32_fp8_fp8 v[8:11], a[114:115], a[34:35], v[8:11]// 0000000038E8: D3F30008 1C224572
	buffer_load_dword v58, s[20:23], 0 offen lds               // 0000000038F0: E0511000 8005003A
	s_add_u32 m0, 0x300, s48                                   // 0000000038F8: 807C30FF 00000300
	v_mfma_f32_16x16x32_fp8_fp8 v[8:11], a[116:117], a[36:37], v[8:11]// 000000003900: D3F30008 1C224974
	v_mfma_f32_16x16x32_fp8_fp8 v[8:11], a[118:119], a[38:39], v[8:11]// 000000003908: D3F30008 1C224D76
	buffer_load_dword v59, s[20:23], 0 offen lds               // 000000003910: E0511000 8005003B
	s_add_u32 m0, 0x400, s48                                   // 000000003918: 807C30FF 00000400
	v_fma_f32 v84, v12, v6, v84                                // 000000003920: D1CB0054 05520D0C
	v_fma_f32 v85, v13, v6, v85                                // 000000003928: D1CB0055 05560D0D
	v_fma_f32 v86, v14, v6, v86                                // 000000003930: D1CB0056 055A0D0E
	v_fma_f32 v87, v15, v6, v87                                // 000000003938: D1CB0057 055E0D0F
	v_mul_f32_dpp v6, v24, v54 row_newbcast:0 row_mask:0xf bank_mask:0xf// 000000003940: 0A0C6CFA FF015018
	v_mfma_f32_16x16x32_fp8_fp8 v[12:15], a[112:113], a[40:41], 0// 000000003948: D3F3000C 1A025170
	v_mfma_f32_16x16x32_fp8_fp8 v[12:15], a[114:115], a[42:43], v[12:15]// 000000003950: D3F3000C 1C325572
	buffer_load_dword v60, s[20:23], 0 offen lds               // 000000003958: E0511000 8005003C
	s_add_u32 m0, 0x500, s48                                   // 000000003960: 807C30FF 00000500
	v_mfma_f32_16x16x32_fp8_fp8 v[12:15], a[116:117], a[44:45], v[12:15]// 000000003968: D3F3000C 1C325974
	v_mfma_f32_16x16x32_fp8_fp8 v[12:15], a[118:119], a[46:47], v[12:15]// 000000003970: D3F3000C 1C325D76
	buffer_load_dword v61, s[20:23], 0 offen lds               // 000000003978: E0511000 8005003D
	s_add_u32 m0, 0x600, s48                                   // 000000003980: 807C30FF 00000600
	v_fma_f32 v88, v8, v4, v88                                 // 000000003988: D1CB0058 05620908
	v_fma_f32 v89, v9, v4, v89                                 // 000000003990: D1CB0059 05660909
	v_fma_f32 v90, v10, v4, v90                                // 000000003998: D1CB005A 056A090A
	v_fma_f32 v91, v11, v4, v91                                // 0000000039A0: D1CB005B 056E090B
	v_mul_f32_dpp v4, v24, v55 row_newbcast:0 row_mask:0xf bank_mask:0xf// 0000000039A8: 0A086EFA FF015018
	v_mfma_f32_16x16x32_fp8_fp8 v[8:11], a[112:113], a[48:49], 0// 0000000039B0: D3F30008 1A026170
	v_mfma_f32_16x16x32_fp8_fp8 v[8:11], a[114:115], a[50:51], v[8:11]// 0000000039B8: D3F30008 1C226572
	buffer_load_dword v62, s[20:23], 0 offen lds               // 0000000039C0: E0511000 8005003E
	s_add_u32 m0, 0x700, s48                                   // 0000000039C8: 807C30FF 00000700
	v_mfma_f32_16x16x32_fp8_fp8 v[8:11], a[116:117], a[52:53], v[8:11]// 0000000039D0: D3F30008 1C226974
	v_mfma_f32_16x16x32_fp8_fp8 v[8:11], a[118:119], a[54:55], v[8:11]// 0000000039D8: D3F30008 1C226D76
	buffer_load_dword v63, s[20:23], 0 offen lds               // 0000000039E0: E0511000 8005003F
	s_add_u32 m0, 0x800, s48                                   // 0000000039E8: 807C30FF 00000800
	v_fma_f32 v92, v12, v6, v92                                // 0000000039F0: D1CB005C 05720D0C
	v_fma_f32 v93, v13, v6, v93                                // 0000000039F8: D1CB005D 05760D0D
	v_fma_f32 v94, v14, v6, v94                                // 000000003A00: D1CB005E 057A0D0E
	v_fma_f32 v95, v15, v6, v95                                // 000000003A08: D1CB005F 057E0D0F
	s_waitcnt vmcnt(13)                                        // 000000003A10: BF8C0F7D
	v_mul_f32_dpp v6, v24, v49 row_newbcast:0 row_mask:0xf bank_mask:0xf// 000000003A14: 0A0C62FA FF015018
	v_mfma_f32_16x16x32_fp8_fp8 v[12:15], a[120:121], a[0:1], 0// 000000003A1C: D3F3000C 1A020178
	v_mfma_f32_16x16x32_fp8_fp8 v[12:15], a[122:123], a[2:3], v[12:15]// 000000003A24: D3F3000C 1C32057A
	buffer_load_dword v64, s[20:23], 0 offen lds               // 000000003A2C: E0511000 80050040
	s_add_u32 m0, 0x900, s48                                   // 000000003A34: 807C30FF 00000900
	v_mfma_f32_16x16x32_fp8_fp8 v[12:15], a[124:125], a[4:5], v[12:15]// 000000003A3C: D3F3000C 1C32097C
	v_mfma_f32_16x16x32_fp8_fp8 v[12:15], a[126:127], a[6:7], v[12:15]// 000000003A44: D3F3000C 1C320D7E
	buffer_load_dword v65, s[20:23], 0 offen lds               // 000000003A4C: E0511000 80050041
	s_add_u32 m0, 0xa00, s48                                   // 000000003A54: 807C30FF 00000A00
	v_fma_f32 v96, v8, v4, v96                                 // 000000003A5C: D1CB0060 05820908
	v_fma_f32 v97, v9, v4, v97                                 // 000000003A64: D1CB0061 05860909
	v_fma_f32 v98, v10, v4, v98                                // 000000003A6C: D1CB0062 058A090A
	v_fma_f32 v99, v11, v4, v99                                // 000000003A74: D1CB0063 058E090B
	v_mul_f32_dpp v4, v24, v50 row_newbcast:0 row_mask:0xf bank_mask:0xf// 000000003A7C: 0A0864FA FF015018
	v_mfma_f32_16x16x32_fp8_fp8 v[8:11], a[120:121], a[8:9], 0 // 000000003A84: D3F30008 1A021178
	v_mfma_f32_16x16x32_fp8_fp8 v[8:11], a[122:123], a[10:11], v[8:11]// 000000003A8C: D3F30008 1C22157A
	buffer_load_dword v66, s[20:23], 0 offen lds               // 000000003A94: E0511000 80050042
	s_add_u32 m0, 0xb00, s48                                   // 000000003A9C: 807C30FF 00000B00
	v_mfma_f32_16x16x32_fp8_fp8 v[8:11], a[124:125], a[12:13], v[8:11]// 000000003AA4: D3F30008 1C22197C
	v_mfma_f32_16x16x32_fp8_fp8 v[8:11], a[126:127], a[14:15], v[8:11]// 000000003AAC: D3F30008 1C221D7E
	buffer_load_dword v67, s[20:23], 0 offen lds               // 000000003AB4: E0511000 80050043
	s_add_u32 m0, 0xc00, s48                                   // 000000003ABC: 807C30FF 00000C00
	v_fma_f32 v100, v12, v6, v100                              // 000000003AC4: D1CB0064 05920D0C
	v_fma_f32 v101, v13, v6, v101                              // 000000003ACC: D1CB0065 05960D0D
	v_fma_f32 v102, v14, v6, v102                              // 000000003AD4: D1CB0066 059A0D0E
	v_fma_f32 v103, v15, v6, v103                              // 000000003ADC: D1CB0067 059E0D0F
	v_mul_f32_dpp v6, v24, v51 row_newbcast:0 row_mask:0xf bank_mask:0xf// 000000003AE4: 0A0C66FA FF015018
	v_mfma_f32_16x16x32_fp8_fp8 v[12:15], a[120:121], a[16:17], 0// 000000003AEC: D3F3000C 1A022178
	v_mfma_f32_16x16x32_fp8_fp8 v[12:15], a[122:123], a[18:19], v[12:15]// 000000003AF4: D3F3000C 1C32257A
	buffer_load_dword v68, s[20:23], 0 offen lds               // 000000003AFC: E0511000 80050044
	s_add_u32 m0, 0xd00, s48                                   // 000000003B04: 807C30FF 00000D00
	v_mfma_f32_16x16x32_fp8_fp8 v[12:15], a[124:125], a[20:21], v[12:15]// 000000003B0C: D3F3000C 1C32297C
	v_mfma_f32_16x16x32_fp8_fp8 v[12:15], a[126:127], a[22:23], v[12:15]// 000000003B14: D3F3000C 1C322D7E
	buffer_load_dword v69, s[20:23], 0 offen lds               // 000000003B1C: E0511000 80050045
	s_add_u32 m0, 0, s49                                       // 000000003B24: 807C3180
	v_fma_f32 v104, v8, v4, v104                               // 000000003B28: D1CB0068 05A20908
	v_fma_f32 v105, v9, v4, v105                               // 000000003B30: D1CB0069 05A60909
	v_fma_f32 v106, v10, v4, v106                              // 000000003B38: D1CB006A 05AA090A
	v_fma_f32 v107, v11, v4, v107                              // 000000003B40: D1CB006B 05AE090B
	v_mul_f32_dpp v4, v24, v52 row_newbcast:0 row_mask:0xf bank_mask:0xf// 000000003B48: 0A0868FA FF015018
	v_mfma_f32_16x16x32_fp8_fp8 v[8:11], a[120:121], a[24:25], 0// 000000003B50: D3F30008 1A023178
	v_mfma_f32_16x16x32_fp8_fp8 v[8:11], a[122:123], a[26:27], v[8:11]// 000000003B58: D3F30008 1C22357A
	buffer_load_dword v35, v28, s[28:31], 0 offen              // 000000003B60: E0501000 8007231C
	v_mfma_f32_16x16x32_fp8_fp8 v[8:11], a[124:125], a[28:29], v[8:11]// 000000003B68: D3F30008 1C22397C
	v_mfma_f32_16x16x32_fp8_fp8 v[8:11], a[126:127], a[30:31], v[8:11]// 000000003B70: D3F30008 1C223D7E
	buffer_load_dword v36, v29, s[28:31], 0 offen              // 000000003B78: E0501000 8007241D
	v_fma_f32 v108, v12, v6, v108                              // 000000003B80: D1CB006C 05B20D0C
	v_fma_f32 v109, v13, v6, v109                              // 000000003B88: D1CB006D 05B60D0D
	v_fma_f32 v110, v14, v6, v110                              // 000000003B90: D1CB006E 05BA0D0E
	v_fma_f32 v111, v15, v6, v111                              // 000000003B98: D1CB006F 05BE0D0F
	v_mul_f32_dpp v6, v24, v53 row_newbcast:0 row_mask:0xf bank_mask:0xf// 000000003BA0: 0A0C6AFA FF015018
	v_mfma_f32_16x16x32_fp8_fp8 v[12:15], a[120:121], a[32:33], 0// 000000003BA8: D3F3000C 1A024178
	v_mfma_f32_16x16x32_fp8_fp8 v[12:15], a[122:123], a[34:35], v[12:15]// 000000003BB0: D3F3000C 1C32457A
	buffer_load_dword v37, v30, s[28:31], 0 offen              // 000000003BB8: E0501000 8007251E
	v_mfma_f32_16x16x32_fp8_fp8 v[12:15], a[124:125], a[36:37], v[12:15]// 000000003BC0: D3F3000C 1C32497C
	v_mfma_f32_16x16x32_fp8_fp8 v[12:15], a[126:127], a[38:39], v[12:15]// 000000003BC8: D3F3000C 1C324D7E
	buffer_load_dword v38, v31, s[28:31], 0 offen              // 000000003BD0: E0501000 8007261F
	v_fma_f32 v112, v8, v4, v112                               // 000000003BD8: D1CB0070 05C20908
	v_fma_f32 v113, v9, v4, v113                               // 000000003BE0: D1CB0071 05C60909
	v_fma_f32 v114, v10, v4, v114                              // 000000003BE8: D1CB0072 05CA090A
	v_fma_f32 v115, v11, v4, v115                              // 000000003BF0: D1CB0073 05CE090B
	v_mul_f32_dpp v4, v24, v54 row_newbcast:0 row_mask:0xf bank_mask:0xf// 000000003BF8: 0A086CFA FF015018
	v_mfma_f32_16x16x32_fp8_fp8 v[8:11], a[120:121], a[40:41], 0// 000000003C00: D3F30008 1A025178
	v_mfma_f32_16x16x32_fp8_fp8 v[8:11], a[122:123], a[42:43], v[8:11]// 000000003C08: D3F30008 1C22557A
	buffer_load_dword v39, v32, s[28:31], 0 offen              // 000000003C10: E0501000 80072720
	v_mfma_f32_16x16x32_fp8_fp8 v[8:11], a[124:125], a[44:45], v[8:11]// 000000003C18: D3F30008 1C22597C
	v_mfma_f32_16x16x32_fp8_fp8 v[8:11], a[126:127], a[46:47], v[8:11]// 000000003C20: D3F30008 1C225D7E
	buffer_load_dword v40, v33, s[28:31], 0 offen              // 000000003C28: E0501000 80072821
	v_fma_f32 v116, v12, v6, v116                              // 000000003C30: D1CB0074 05D20D0C
	v_fma_f32 v117, v13, v6, v117                              // 000000003C38: D1CB0075 05D60D0D
	v_fma_f32 v118, v14, v6, v118                              // 000000003C40: D1CB0076 05DA0D0E
	v_fma_f32 v119, v15, v6, v119                              // 000000003C48: D1CB0077 05DE0D0F
	v_mul_f32_dpp v6, v24, v55 row_newbcast:0 row_mask:0xf bank_mask:0xf// 000000003C50: 0A0C6EFA FF015018
	v_mfma_f32_16x16x32_fp8_fp8 v[12:15], a[120:121], a[48:49], 0// 000000003C58: D3F3000C 1A026178
	v_mfma_f32_16x16x32_fp8_fp8 v[12:15], a[122:123], a[50:51], v[12:15]// 000000003C60: D3F3000C 1C32657A
	buffer_load_dword v41, v34, s[28:31], 0 offen              // 000000003C68: E0501000 80072922
	s_add_u32 s60, 0x80, s80                                   // 000000003C70: 803C50FF 00000080
	s_cmp_lt_u32 s60, s81                                      // 000000003C78: BF0A513C
	s_cselect_b32 s83, s83, 0                                  // 000000003C7C: 85538053
	s_cselect_b32 s4, s4, 0                                    // 000000003C80: 85048004
	v_mfma_f32_16x16x32_fp8_fp8 v[12:15], a[124:125], a[52:53], v[12:15]// 000000003C84: D3F3000C 1C32697C
	s_add_u32 s32, s4, s32                                     // 000000003C8C: 80202004
	s_addc_u32 s33, 0, s33                                     // 000000003C90: 82212180
	v_mfma_f32_16x16x32_fp8_fp8 v[12:15], a[126:127], a[54:55], v[12:15]// 000000003C94: D3F3000C 1C326D7E
	v_fma_f32 v120, v8, v4, v120                               // 000000003C9C: D1CB0078 05E20908
	v_fma_f32 v121, v9, v4, v121                               // 000000003CA4: D1CB0079 05E60909
	v_fma_f32 v122, v10, v4, v122                              // 000000003CAC: D1CB007A 05EA090A
	v_fma_f32 v123, v11, v4, v123                              // 000000003CB4: D1CB007B 05EE090B
	v_fma_f32 v124, v12, v6, v124                              // 000000003CBC: D1CB007C 05F20D0C
	v_fma_f32 v125, v13, v6, v125                              // 000000003CC4: D1CB007D 05F60D0D
	v_fma_f32 v126, v14, v6, v126                              // 000000003CCC: D1CB007E 05FA0D0E
	v_fma_f32 v127, v15, v6, v127                              // 000000003CD4: D1CB007F 05FE0D0F
	s_waitcnt vmcnt(21)                                        // 000000003CDC: BF8C4F75
	v_mul_f32_dpp v4, v27, v49 row_newbcast:0 row_mask:0xf bank_mask:0xf// 000000003CE0: 0A0862FA FF01501B
	v_mfma_f32_16x16x32_fp8_fp8 v[8:11], a[128:129], a[0:1], 0 // 000000003CE8: D3F30008 1A020180
	buffer_load_dword v24, v22, s[32:35], 0 offen              // 000000003CF0: E0501000 80081816
	v_mfma_f32_16x16x32_fp8_fp8 v[8:11], a[130:131], a[2:3], v[8:11]// 000000003CF8: D3F30008 1C220582
	buffer_load_dwordx4 a[112:115], v70, s[24:27], 0 offen     // 000000003D00: E05C1000 80867046
	v_mfma_f32_16x16x32_fp8_fp8 v[8:11], a[132:133], a[4:5], v[8:11]// 000000003D08: D3F30008 1C220984
	v_mfma_f32_16x16x32_fp8_fp8 v[8:11], a[134:135], a[6:7], v[8:11]// 000000003D10: D3F30008 1C220D86
	ds_read_b128 a[56:59], v2 offset:14464                     // 000000003D18: DBFE3880 38000002
	ds_read_b128 a[60:63], v2 offset:14528                     // 000000003D20: DBFE38C0 3C000002
	v_mfma_f32_16x16x32_fp8_fp8 v[12:15], a[136:137], a[0:1], 0// 000000003D28: D3F3000C 1A020188
	v_mfma_f32_16x16x32_fp8_fp8 v[12:15], a[138:139], a[2:3], v[12:15]// 000000003D30: D3F3000C 1C32058A
	buffer_load_dwordx4 a[116:119], v70, s[24:27], 0 offen offset:1024// 000000003D38: E05C1400 80867446
	v_mfma_f32_16x16x32_fp8_fp8 v[12:15], a[140:141], a[4:5], v[12:15]// 000000003D40: D3F3000C 1C32098C
	v_mfma_f32_16x16x32_fp8_fp8 v[12:15], a[142:143], a[6:7], v[12:15]// 000000003D48: D3F3000C 1C320D8E
	ds_read_b128 a[64:67], v2 offset:14976                     // 000000003D50: DBFE3A80 40000002
	ds_read_b128 a[68:71], v2 offset:15040                     // 000000003D58: DBFE3AC0 44000002
	v_fma_f32 v128, v8, v4, v128                               // 000000003D60: D1CB0080 06020908
	v_fma_f32 v129, v9, v4, v129                               // 000000003D68: D1CB0081 06060909
	v_fma_f32 v130, v10, v4, v130                              // 000000003D70: D1CB0082 060A090A
	v_fma_f32 v131, v11, v4, v131                              // 000000003D78: D1CB0083 060E090B
	v_mul_f32_dpp v6, v27, v50 row_newbcast:0 row_mask:0xf bank_mask:0xf// 000000003D80: 0A0C64FA FF01501B
	v_mfma_f32_16x16x32_fp8_fp8 v[8:11], a[128:129], a[8:9], 0 // 000000003D88: D3F30008 1A021180
	v_mfma_f32_16x16x32_fp8_fp8 v[8:11], a[130:131], a[10:11], v[8:11]// 000000003D90: D3F30008 1C221582
	buffer_load_dwordx4 a[120:123], v71, s[24:27], 0 offen     // 000000003D98: E05C1000 80867847
	v_mfma_f32_16x16x32_fp8_fp8 v[8:11], a[132:133], a[12:13], v[8:11]// 000000003DA0: D3F30008 1C221984
	v_mfma_f32_16x16x32_fp8_fp8 v[8:11], a[134:135], a[14:15], v[8:11]// 000000003DA8: D3F30008 1C221D86
	ds_read_b128 a[72:75], v2 offset:15488                     // 000000003DB0: DBFE3C80 48000002
	ds_read_b128 a[76:79], v2 offset:15552                     // 000000003DB8: DBFE3CC0 4C000002
	v_fma_f32 v156, v12, v4, v156                              // 000000003DC0: D1CB009C 0672090C
	v_fma_f32 v157, v13, v4, v157                              // 000000003DC8: D1CB009D 0676090D
	v_fma_f32 v158, v14, v4, v158                              // 000000003DD0: D1CB009E 067A090E
	v_fma_f32 v159, v15, v4, v159                              // 000000003DD8: D1CB009F 067E090F
	v_mfma_f32_16x16x32_fp8_fp8 v[12:15], a[136:137], a[8:9], 0// 000000003DE0: D3F3000C 1A021188
	v_mfma_f32_16x16x32_fp8_fp8 v[12:15], a[138:139], a[10:11], v[12:15]// 000000003DE8: D3F3000C 1C32158A
	buffer_load_dwordx4 a[124:127], v71, s[24:27], 0 offen offset:1024// 000000003DF0: E05C1400 80867C47
	v_mfma_f32_16x16x32_fp8_fp8 v[12:15], a[140:141], a[12:13], v[12:15]// 000000003DF8: D3F3000C 1C32198C
	v_mfma_f32_16x16x32_fp8_fp8 v[12:15], a[142:143], a[14:15], v[12:15]// 000000003E00: D3F3000C 1C321D8E
	ds_read_b128 a[80:83], v2 offset:16000                     // 000000003E08: DBFE3E80 50000002
	ds_read_b128 a[84:87], v2 offset:16064                     // 000000003E10: DBFE3EC0 54000002
	v_fma_f32 v132, v8, v6, v132                               // 000000003E18: D1CB0084 06120D08
	v_fma_f32 v133, v9, v6, v133                               // 000000003E20: D1CB0085 06160D09
	v_fma_f32 v134, v10, v6, v134                              // 000000003E28: D1CB0086 061A0D0A
	v_fma_f32 v135, v11, v6, v135                              // 000000003E30: D1CB0087 061E0D0B
	v_mul_f32_dpp v4, v27, v51 row_newbcast:0 row_mask:0xf bank_mask:0xf// 000000003E38: 0A0866FA FF01501B
	v_mfma_f32_16x16x32_fp8_fp8 v[8:11], a[128:129], a[16:17], 0// 000000003E40: D3F30008 1A022180
	v_mfma_f32_16x16x32_fp8_fp8 v[8:11], a[130:131], a[18:19], v[8:11]// 000000003E48: D3F30008 1C222582
	v_mfma_f32_16x16x32_fp8_fp8 v[8:11], a[132:133], a[20:21], v[8:11]// 000000003E50: D3F30008 1C222984
	v_mfma_f32_16x16x32_fp8_fp8 v[8:11], a[134:135], a[22:23], v[8:11]// 000000003E58: D3F30008 1C222D86
	ds_read_b128 a[88:91], v2 offset:16512                     // 000000003E60: DBFE4080 58000002
	ds_read_b128 a[92:95], v2 offset:16576                     // 000000003E68: DBFE40C0 5C000002
	v_fma_f32 v160, v12, v6, v160                              // 000000003E70: D1CB00A0 06820D0C
	v_fma_f32 v161, v13, v6, v161                              // 000000003E78: D1CB00A1 06860D0D
	v_fma_f32 v162, v14, v6, v162                              // 000000003E80: D1CB00A2 068A0D0E
	v_fma_f32 v163, v15, v6, v163                              // 000000003E88: D1CB00A3 068E0D0F
	v_mfma_f32_16x16x32_fp8_fp8 v[12:15], a[136:137], a[16:17], 0// 000000003E90: D3F3000C 1A022188
	v_mfma_f32_16x16x32_fp8_fp8 v[12:15], a[138:139], a[18:19], v[12:15]// 000000003E98: D3F3000C 1C32258A
	v_mfma_f32_16x16x32_fp8_fp8 v[12:15], a[140:141], a[20:21], v[12:15]// 000000003EA0: D3F3000C 1C32298C
	v_mfma_f32_16x16x32_fp8_fp8 v[12:15], a[142:143], a[22:23], v[12:15]// 000000003EA8: D3F3000C 1C322D8E
	ds_read_b128 a[96:99], v2 offset:17024                     // 000000003EB0: DBFE4280 60000002
	ds_read_b128 a[100:103], v2 offset:17088                   // 000000003EB8: DBFE42C0 64000002
	v_fma_f32 v136, v8, v4, v136                               // 000000003EC0: D1CB0088 06220908
	v_fma_f32 v137, v9, v4, v137                               // 000000003EC8: D1CB0089 06260909
	v_fma_f32 v138, v10, v4, v138                              // 000000003ED0: D1CB008A 062A090A
	v_fma_f32 v139, v11, v4, v139                              // 000000003ED8: D1CB008B 062E090B
	v_mul_f32_dpp v6, v27, v52 row_newbcast:0 row_mask:0xf bank_mask:0xf// 000000003EE0: 0A0C68FA FF01501B
	v_mfma_f32_16x16x32_fp8_fp8 v[8:11], a[128:129], a[24:25], 0// 000000003EE8: D3F30008 1A023180
	v_mfma_f32_16x16x32_fp8_fp8 v[8:11], a[130:131], a[26:27], v[8:11]// 000000003EF0: D3F30008 1C223582
	v_mfma_f32_16x16x32_fp8_fp8 v[8:11], a[132:133], a[28:29], v[8:11]// 000000003EF8: D3F30008 1C223984
	v_mfma_f32_16x16x32_fp8_fp8 v[8:11], a[134:135], a[30:31], v[8:11]// 000000003F00: D3F30008 1C223D86
	ds_read_b128 a[104:107], v2 offset:17536                   // 000000003F08: DBFE4480 68000002
	ds_read_b128 a[108:111], v2 offset:17600                   // 000000003F10: DBFE44C0 6C000002
	v_fma_f32 v164, v12, v4, v164                              // 000000003F18: D1CB00A4 0692090C
	v_fma_f32 v165, v13, v4, v165                              // 000000003F20: D1CB00A5 0696090D
	v_fma_f32 v166, v14, v4, v166                              // 000000003F28: D1CB00A6 069A090E
	v_fma_f32 v167, v15, v4, v167                              // 000000003F30: D1CB00A7 069E090F
	v_mfma_f32_16x16x32_fp8_fp8 v[12:15], a[136:137], a[24:25], 0// 000000003F38: D3F3000C 1A023188
	v_mfma_f32_16x16x32_fp8_fp8 v[12:15], a[138:139], a[26:27], v[12:15]// 000000003F40: D3F3000C 1C32358A
	v_mfma_f32_16x16x32_fp8_fp8 v[12:15], a[140:141], a[28:29], v[12:15]// 000000003F48: D3F3000C 1C32398C
	v_mfma_f32_16x16x32_fp8_fp8 v[12:15], a[142:143], a[30:31], v[12:15]// 000000003F50: D3F3000C 1C323D8E
	v_fma_f32 v140, v8, v6, v140                               // 000000003F58: D1CB008C 06320D08
	v_fma_f32 v141, v9, v6, v141                               // 000000003F60: D1CB008D 06360D09
	v_fma_f32 v142, v10, v6, v142                              // 000000003F68: D1CB008E 063A0D0A
	v_fma_f32 v143, v11, v6, v143                              // 000000003F70: D1CB008F 063E0D0B
	v_mul_f32_dpp v4, v27, v53 row_newbcast:0 row_mask:0xf bank_mask:0xf// 000000003F78: 0A086AFA FF01501B
	v_mfma_f32_16x16x32_fp8_fp8 v[8:11], a[128:129], a[32:33], 0// 000000003F80: D3F30008 1A024180
	v_mfma_f32_16x16x32_fp8_fp8 v[8:11], a[130:131], a[34:35], v[8:11]// 000000003F88: D3F30008 1C224582
	v_mfma_f32_16x16x32_fp8_fp8 v[8:11], a[132:133], a[36:37], v[8:11]// 000000003F90: D3F30008 1C224984
	v_mfma_f32_16x16x32_fp8_fp8 v[8:11], a[134:135], a[38:39], v[8:11]// 000000003F98: D3F30008 1C224D86
	v_fma_f32 v168, v12, v6, v168                              // 000000003FA0: D1CB00A8 06A20D0C
	v_fma_f32 v169, v13, v6, v169                              // 000000003FA8: D1CB00A9 06A60D0D
	v_fma_f32 v170, v14, v6, v170                              // 000000003FB0: D1CB00AA 06AA0D0E
	v_fma_f32 v171, v15, v6, v171                              // 000000003FB8: D1CB00AB 06AE0D0F
	v_mfma_f32_16x16x32_fp8_fp8 v[12:15], a[136:137], a[32:33], 0// 000000003FC0: D3F3000C 1A024188
	v_mfma_f32_16x16x32_fp8_fp8 v[12:15], a[138:139], a[34:35], v[12:15]// 000000003FC8: D3F3000C 1C32458A
	v_mfma_f32_16x16x32_fp8_fp8 v[12:15], a[140:141], a[36:37], v[12:15]// 000000003FD0: D3F3000C 1C32498C
	v_mfma_f32_16x16x32_fp8_fp8 v[12:15], a[142:143], a[38:39], v[12:15]// 000000003FD8: D3F3000C 1C324D8E
	v_fma_f32 v144, v8, v4, v144                               // 000000003FE0: D1CB0090 06420908
	v_fma_f32 v145, v9, v4, v145                               // 000000003FE8: D1CB0091 06460909
	v_fma_f32 v146, v10, v4, v146                              // 000000003FF0: D1CB0092 064A090A
	v_fma_f32 v147, v11, v4, v147                              // 000000003FF8: D1CB0093 064E090B
	v_mul_f32_dpp v6, v27, v54 row_newbcast:0 row_mask:0xf bank_mask:0xf// 000000004000: 0A0C6CFA FF01501B
	v_mfma_f32_16x16x32_fp8_fp8 v[8:11], a[128:129], a[40:41], 0// 000000004008: D3F30008 1A025180
	v_mfma_f32_16x16x32_fp8_fp8 v[8:11], a[130:131], a[42:43], v[8:11]// 000000004010: D3F30008 1C225582
	v_mfma_f32_16x16x32_fp8_fp8 v[8:11], a[132:133], a[44:45], v[8:11]// 000000004018: D3F30008 1C225984
	v_mfma_f32_16x16x32_fp8_fp8 v[8:11], a[134:135], a[46:47], v[8:11]// 000000004020: D3F30008 1C225D86
	v_fma_f32 v172, v12, v4, v172                              // 000000004028: D1CB00AC 06B2090C
	v_fma_f32 v173, v13, v4, v173                              // 000000004030: D1CB00AD 06B6090D
	v_fma_f32 v174, v14, v4, v174                              // 000000004038: D1CB00AE 06BA090E
	v_fma_f32 v175, v15, v4, v175                              // 000000004040: D1CB00AF 06BE090F
	v_mfma_f32_16x16x32_fp8_fp8 v[12:15], a[136:137], a[40:41], 0// 000000004048: D3F3000C 1A025188
	v_mfma_f32_16x16x32_fp8_fp8 v[12:15], a[138:139], a[42:43], v[12:15]// 000000004050: D3F3000C 1C32558A
	v_mfma_f32_16x16x32_fp8_fp8 v[12:15], a[140:141], a[44:45], v[12:15]// 000000004058: D3F3000C 1C32598C
	v_mfma_f32_16x16x32_fp8_fp8 v[12:15], a[142:143], a[46:47], v[12:15]// 000000004060: D3F3000C 1C325D8E
	v_fma_f32 v148, v8, v6, v148                               // 000000004068: D1CB0094 06520D08
	v_fma_f32 v149, v9, v6, v149                               // 000000004070: D1CB0095 06560D09
	v_fma_f32 v150, v10, v6, v150                              // 000000004078: D1CB0096 065A0D0A
	v_fma_f32 v151, v11, v6, v151                              // 000000004080: D1CB0097 065E0D0B
	v_mul_f32_dpp v4, v27, v55 row_newbcast:0 row_mask:0xf bank_mask:0xf// 000000004088: 0A086EFA FF01501B
	v_mfma_f32_16x16x32_fp8_fp8 v[8:11], a[128:129], a[48:49], 0// 000000004090: D3F30008 1A026180
	v_mfma_f32_16x16x32_fp8_fp8 v[8:11], a[130:131], a[50:51], v[8:11]// 000000004098: D3F30008 1C226582
	v_mfma_f32_16x16x32_fp8_fp8 v[8:11], a[132:133], a[52:53], v[8:11]// 0000000040A0: D3F30008 1C226984
	s_add_u32 s60, 0x180, s80                                  // 0000000040A8: 803C50FF 00000180
	s_cmp_lt_u32 s60, s81                                      // 0000000040B0: BF0A513C
	s_cselect_b32 s57, s57, 0                                  // 0000000040B4: 85398039
	s_cselect_b32 s3, s3, 0                                    // 0000000040B8: 85038003
	v_mfma_f32_16x16x32_fp8_fp8 v[8:11], a[134:135], a[54:55], v[8:11]// 0000000040BC: D3F30008 1C226D86
	s_add_u32 s60, 0x100, s80                                  // 0000000040C4: 803C50FF 00000100
	s_cmp_lt_u32 s60, s81                                      // 0000000040CC: BF0A513C
	s_cselect_b32 s58, s58, 0                                  // 0000000040D0: 853A803A
	v_fma_f32 v176, v12, v6, v176                              // 0000000040D4: D1CB00B0 06C20D0C
	v_fma_f32 v177, v13, v6, v177                              // 0000000040DC: D1CB00B1 06C60D0D
	v_fma_f32 v178, v14, v6, v178                              // 0000000040E4: D1CB00B2 06CA0D0E
	v_fma_f32 v179, v15, v6, v179                              // 0000000040EC: D1CB00B3 06CE0D0F
	v_mfma_f32_16x16x32_fp8_fp8 v[12:15], a[136:137], a[48:49], 0// 0000000040F4: D3F3000C 1A026188
	s_add_u32 s24, s58, s24                                    // 0000000040FC: 8018183A
	s_addc_u32 s25, 0, s25                                     // 000000004100: 82191980
	v_mfma_f32_16x16x32_fp8_fp8 v[12:15], a[138:139], a[50:51], v[12:15]// 000000004104: D3F3000C 1C32658A
	s_add_u32 s20, s57, s20                                    // 00000000410C: 80141439
	s_addc_u32 s21, 0, s21                                     // 000000004110: 82151580
	s_add_u32 s28, s3, s28                                     // 000000004114: 801C1C03
	s_addc_u32 s29, 0, s29                                     // 000000004118: 821D1D80
	v_mfma_f32_16x16x32_fp8_fp8 v[12:15], a[140:141], a[52:53], v[12:15]// 00000000411C: D3F3000C 1C32698C
	s_add_u32 s84, s83, s84                                    // 000000004124: 80545453
	s_addc_u32 s85, 0, s85                                     // 000000004128: 82555580
	v_mfma_f32_16x16x32_fp8_fp8 v[12:15], a[142:143], a[54:55], v[12:15]// 00000000412C: D3F3000C 1C326D8E
	v_fma_f32 v152, v8, v4, v152                               // 000000004134: D1CB0098 06620908
	v_fma_f32 v153, v9, v4, v153                               // 00000000413C: D1CB0099 06660909
	v_fma_f32 v154, v10, v4, v154                              // 000000004144: D1CB009A 066A090A
	v_fma_f32 v155, v11, v4, v155                              // 00000000414C: D1CB009B 066E090B
	v_fma_f32 v180, v12, v4, v180                              // 000000004154: D1CB00B4 06D2090C
	v_fma_f32 v181, v13, v4, v181                              // 00000000415C: D1CB00B5 06D6090D
	v_fma_f32 v182, v14, v4, v182                              // 000000004164: D1CB00B6 06DA090E
	v_fma_f32 v183, v15, v4, v183                              // 00000000416C: D1CB00B7 06DE090F
	s_addk_i32 s80, 0x80                                       // 000000004174: B7500080
	s_cmp_lt_i32 s80, s81                                      // 000000004178: BF045150
	s_cbranch_scc0 label_0866                                  // 00000000417C: BF840286
	s_waitcnt vmcnt(2) lgkmcnt(0)                              // 000000004180: BF8C0072
	s_barrier                                                  // 000000004184: BF8A0000
	v_mov_b32_e32 v49, v42                                     // 000000004188: 7E62032A
	v_mov_b32_e32 v50, v43                                     // 00000000418C: 7E64032B
	v_mov_b32_e32 v51, v44                                     // 000000004190: 7E66032C
	v_mov_b32_e32 v52, v45                                     // 000000004194: 7E68032D
	v_mov_b32_e32 v53, v46                                     // 000000004198: 7E6A032E
	v_mov_b32_e32 v54, v47                                     // 00000000419C: 7E6C032F
	v_mov_b32_e32 v55, v48                                     // 0000000041A0: 7E6E0330
	v_mul_f32_dpp v4, v24, v49 row_newbcast:0 row_mask:0xf bank_mask:0xf// 0000000041A4: 0A0862FA FF015018
	v_mfma_f32_16x16x32_fp8_fp8 v[8:11], a[112:113], a[56:57], 0// 0000000041AC: D3F30008 1A027170
	buffer_load_dword v27, v23, s[32:35], 0 offen              // 0000000041B4: E0501000 80081B17
	v_mfma_f32_16x16x32_fp8_fp8 v[8:11], a[114:115], a[58:59], v[8:11]// 0000000041BC: D3F30008 1C227572
	buffer_load_dwordx4 a[128:131], v70, s[84:87], 0 offen     // 0000000041C4: E05C1000 80958046
	v_mfma_f32_16x16x32_fp8_fp8 v[8:11], a[116:117], a[60:61], v[8:11]// 0000000041CC: D3F30008 1C227974
	v_mfma_f32_16x16x32_fp8_fp8 v[8:11], a[118:119], a[62:63], v[8:11]// 0000000041D4: D3F30008 1C227D76
	v_mul_f32_dpp v6, v24, v50 row_newbcast:0 row_mask:0xf bank_mask:0xf// 0000000041DC: 0A0C64FA FF015018
	v_mfma_f32_16x16x32_fp8_fp8 v[12:15], a[112:113], a[64:65], 0// 0000000041E4: D3F3000C 1A028170
	v_mfma_f32_16x16x32_fp8_fp8 v[12:15], a[114:115], a[66:67], v[12:15]// 0000000041EC: D3F3000C 1C328572
	buffer_load_dwordx4 a[132:135], v70, s[84:87], 0 offen offset:1024// 0000000041F4: E05C1400 80958446
	v_mfma_f32_16x16x32_fp8_fp8 v[12:15], a[116:117], a[68:69], v[12:15]// 0000000041FC: D3F3000C 1C328974
	v_mfma_f32_16x16x32_fp8_fp8 v[12:15], a[118:119], a[70:71], v[12:15]// 000000004204: D3F3000C 1C328D76
	v_fma_f32 v72, v8, v4, v72                                 // 00000000420C: D1CB0048 05220908
	v_fma_f32 v73, v9, v4, v73                                 // 000000004214: D1CB0049 05260909
	v_fma_f32 v74, v10, v4, v74                                // 00000000421C: D1CB004A 052A090A
	v_fma_f32 v75, v11, v4, v75                                // 000000004224: D1CB004B 052E090B
	v_mul_f32_dpp v4, v24, v51 row_newbcast:0 row_mask:0xf bank_mask:0xf// 00000000422C: 0A0866FA FF015018
	v_mfma_f32_16x16x32_fp8_fp8 v[8:11], a[112:113], a[72:73], 0// 000000004234: D3F30008 1A029170
	v_mfma_f32_16x16x32_fp8_fp8 v[8:11], a[114:115], a[74:75], v[8:11]// 00000000423C: D3F30008 1C229572
	buffer_load_dwordx4 a[136:139], v71, s[84:87], 0 offen     // 000000004244: E05C1000 80958847
	v_mfma_f32_16x16x32_fp8_fp8 v[8:11], a[116:117], a[76:77], v[8:11]// 00000000424C: D3F30008 1C229974
	v_mfma_f32_16x16x32_fp8_fp8 v[8:11], a[118:119], a[78:79], v[8:11]// 000000004254: D3F30008 1C229D76
	v_fma_f32 v76, v12, v6, v76                                // 00000000425C: D1CB004C 05320D0C
	v_fma_f32 v77, v13, v6, v77                                // 000000004264: D1CB004D 05360D0D
	v_fma_f32 v78, v14, v6, v78                                // 00000000426C: D1CB004E 053A0D0E
	v_fma_f32 v79, v15, v6, v79                                // 000000004274: D1CB004F 053E0D0F
	v_mul_f32_dpp v6, v24, v52 row_newbcast:0 row_mask:0xf bank_mask:0xf// 00000000427C: 0A0C68FA FF015018
	v_mfma_f32_16x16x32_fp8_fp8 v[12:15], a[112:113], a[80:81], 0// 000000004284: D3F3000C 1A02A170
	v_mfma_f32_16x16x32_fp8_fp8 v[12:15], a[114:115], a[82:83], v[12:15]// 00000000428C: D3F3000C 1C32A572
	buffer_load_dwordx4 a[140:143], v71, s[84:87], 0 offen offset:1024// 000000004294: E05C1400 80958C47
	buffer_load_dword v56, s[20:23], 0 offen lds               // 00000000429C: E0511000 80050038
	s_add_u32 m0, 0x100, s49                                   // 0000000042A4: 807C31FF 00000100
	v_mfma_f32_16x16x32_fp8_fp8 v[12:15], a[116:117], a[84:85], v[12:15]// 0000000042AC: D3F3000C 1C32A974
	v_mfma_f32_16x16x32_fp8_fp8 v[12:15], a[118:119], a[86:87], v[12:15]// 0000000042B4: D3F3000C 1C32AD76
	buffer_load_dword v57, s[20:23], 0 offen lds               // 0000000042BC: E0511000 80050039
	s_add_u32 m0, 0x200, s49                                   // 0000000042C4: 807C31FF 00000200
	v_fma_f32 v80, v8, v4, v80                                 // 0000000042CC: D1CB0050 05420908
	v_fma_f32 v81, v9, v4, v81                                 // 0000000042D4: D1CB0051 05460909
	v_fma_f32 v82, v10, v4, v82                                // 0000000042DC: D1CB0052 054A090A
	v_fma_f32 v83, v11, v4, v83                                // 0000000042E4: D1CB0053 054E090B
	v_mul_f32_dpp v4, v24, v53 row_newbcast:0 row_mask:0xf bank_mask:0xf// 0000000042EC: 0A086AFA FF015018
	v_mfma_f32_16x16x32_fp8_fp8 v[8:11], a[112:113], a[88:89], 0// 0000000042F4: D3F30008 1A02B170
	v_mfma_f32_16x16x32_fp8_fp8 v[8:11], a[114:115], a[90:91], v[8:11]// 0000000042FC: D3F30008 1C22B572
	buffer_load_dword v58, s[20:23], 0 offen lds               // 000000004304: E0511000 8005003A
	s_add_u32 m0, 0x300, s49                                   // 00000000430C: 807C31FF 00000300
	v_mfma_f32_16x16x32_fp8_fp8 v[8:11], a[116:117], a[92:93], v[8:11]// 000000004314: D3F30008 1C22B974
	v_mfma_f32_16x16x32_fp8_fp8 v[8:11], a[118:119], a[94:95], v[8:11]// 00000000431C: D3F30008 1C22BD76
	buffer_load_dword v59, s[20:23], 0 offen lds               // 000000004324: E0511000 8005003B
	s_add_u32 m0, 0x400, s49                                   // 00000000432C: 807C31FF 00000400
	v_fma_f32 v84, v12, v6, v84                                // 000000004334: D1CB0054 05520D0C
	v_fma_f32 v85, v13, v6, v85                                // 00000000433C: D1CB0055 05560D0D
	v_fma_f32 v86, v14, v6, v86                                // 000000004344: D1CB0056 055A0D0E
	v_fma_f32 v87, v15, v6, v87                                // 00000000434C: D1CB0057 055E0D0F
	v_mul_f32_dpp v6, v24, v54 row_newbcast:0 row_mask:0xf bank_mask:0xf// 000000004354: 0A0C6CFA FF015018
	v_mfma_f32_16x16x32_fp8_fp8 v[12:15], a[112:113], a[96:97], 0// 00000000435C: D3F3000C 1A02C170
	v_mfma_f32_16x16x32_fp8_fp8 v[12:15], a[114:115], a[98:99], v[12:15]// 000000004364: D3F3000C 1C32C572
	buffer_load_dword v60, s[20:23], 0 offen lds               // 00000000436C: E0511000 8005003C
	s_add_u32 m0, 0x500, s49                                   // 000000004374: 807C31FF 00000500
	v_mfma_f32_16x16x32_fp8_fp8 v[12:15], a[116:117], a[100:101], v[12:15]// 00000000437C: D3F3000C 1C32C974
	v_mfma_f32_16x16x32_fp8_fp8 v[12:15], a[118:119], a[102:103], v[12:15]// 000000004384: D3F3000C 1C32CD76
	buffer_load_dword v61, s[20:23], 0 offen lds               // 00000000438C: E0511000 8005003D
	s_add_u32 m0, 0x600, s49                                   // 000000004394: 807C31FF 00000600
	v_fma_f32 v88, v8, v4, v88                                 // 00000000439C: D1CB0058 05620908
	v_fma_f32 v89, v9, v4, v89                                 // 0000000043A4: D1CB0059 05660909
	v_fma_f32 v90, v10, v4, v90                                // 0000000043AC: D1CB005A 056A090A
	v_fma_f32 v91, v11, v4, v91                                // 0000000043B4: D1CB005B 056E090B
	v_mul_f32_dpp v4, v24, v55 row_newbcast:0 row_mask:0xf bank_mask:0xf// 0000000043BC: 0A086EFA FF015018
	v_mfma_f32_16x16x32_fp8_fp8 v[8:11], a[112:113], a[104:105], 0// 0000000043C4: D3F30008 1A02D170
	v_mfma_f32_16x16x32_fp8_fp8 v[8:11], a[114:115], a[106:107], v[8:11]// 0000000043CC: D3F30008 1C22D572
	buffer_load_dword v62, s[20:23], 0 offen lds               // 0000000043D4: E0511000 8005003E
	s_add_u32 m0, 0x700, s49                                   // 0000000043DC: 807C31FF 00000700
	v_mfma_f32_16x16x32_fp8_fp8 v[8:11], a[116:117], a[108:109], v[8:11]// 0000000043E4: D3F30008 1C22D974
	v_mfma_f32_16x16x32_fp8_fp8 v[8:11], a[118:119], a[110:111], v[8:11]// 0000000043EC: D3F30008 1C22DD76
	buffer_load_dword v63, s[20:23], 0 offen lds               // 0000000043F4: E0511000 8005003F
	s_add_u32 m0, 0x800, s49                                   // 0000000043FC: 807C31FF 00000800
	v_fma_f32 v92, v12, v6, v92                                // 000000004404: D1CB005C 05720D0C
	v_fma_f32 v93, v13, v6, v93                                // 00000000440C: D1CB005D 05760D0D
	v_fma_f32 v94, v14, v6, v94                                // 000000004414: D1CB005E 057A0D0E
	v_fma_f32 v95, v15, v6, v95                                // 00000000441C: D1CB005F 057E0D0F
	s_waitcnt vmcnt(13)                                        // 000000004424: BF8C0F7D
	v_mul_f32_dpp v6, v24, v49 row_newbcast:0 row_mask:0xf bank_mask:0xf// 000000004428: 0A0C62FA FF015018
	v_mfma_f32_16x16x32_fp8_fp8 v[12:15], a[120:121], a[56:57], 0// 000000004430: D3F3000C 1A027178
	v_mfma_f32_16x16x32_fp8_fp8 v[12:15], a[122:123], a[58:59], v[12:15]// 000000004438: D3F3000C 1C32757A
	buffer_load_dword v64, s[20:23], 0 offen lds               // 000000004440: E0511000 80050040
	s_add_u32 m0, 0x900, s49                                   // 000000004448: 807C31FF 00000900
	v_mfma_f32_16x16x32_fp8_fp8 v[12:15], a[124:125], a[60:61], v[12:15]// 000000004450: D3F3000C 1C32797C
	v_mfma_f32_16x16x32_fp8_fp8 v[12:15], a[126:127], a[62:63], v[12:15]// 000000004458: D3F3000C 1C327D7E
	buffer_load_dword v65, s[20:23], 0 offen lds               // 000000004460: E0511000 80050041
	s_add_u32 m0, 0xa00, s49                                   // 000000004468: 807C31FF 00000A00
	v_fma_f32 v96, v8, v4, v96                                 // 000000004470: D1CB0060 05820908
	v_fma_f32 v97, v9, v4, v97                                 // 000000004478: D1CB0061 05860909
	v_fma_f32 v98, v10, v4, v98                                // 000000004480: D1CB0062 058A090A
	v_fma_f32 v99, v11, v4, v99                                // 000000004488: D1CB0063 058E090B
	v_mul_f32_dpp v4, v24, v50 row_newbcast:0 row_mask:0xf bank_mask:0xf// 000000004490: 0A0864FA FF015018
	v_mfma_f32_16x16x32_fp8_fp8 v[8:11], a[120:121], a[64:65], 0// 000000004498: D3F30008 1A028178
	v_mfma_f32_16x16x32_fp8_fp8 v[8:11], a[122:123], a[66:67], v[8:11]// 0000000044A0: D3F30008 1C22857A
	buffer_load_dword v66, s[20:23], 0 offen lds               // 0000000044A8: E0511000 80050042
	s_add_u32 m0, 0xb00, s49                                   // 0000000044B0: 807C31FF 00000B00
	v_mfma_f32_16x16x32_fp8_fp8 v[8:11], a[124:125], a[68:69], v[8:11]// 0000000044B8: D3F30008 1C22897C
	v_mfma_f32_16x16x32_fp8_fp8 v[8:11], a[126:127], a[70:71], v[8:11]// 0000000044C0: D3F30008 1C228D7E
	buffer_load_dword v67, s[20:23], 0 offen lds               // 0000000044C8: E0511000 80050043
	s_add_u32 m0, 0xc00, s49                                   // 0000000044D0: 807C31FF 00000C00
	v_fma_f32 v100, v12, v6, v100                              // 0000000044D8: D1CB0064 05920D0C
	v_fma_f32 v101, v13, v6, v101                              // 0000000044E0: D1CB0065 05960D0D
	v_fma_f32 v102, v14, v6, v102                              // 0000000044E8: D1CB0066 059A0D0E
	v_fma_f32 v103, v15, v6, v103                              // 0000000044F0: D1CB0067 059E0D0F
	v_mul_f32_dpp v6, v24, v51 row_newbcast:0 row_mask:0xf bank_mask:0xf// 0000000044F8: 0A0C66FA FF015018
	v_mfma_f32_16x16x32_fp8_fp8 v[12:15], a[120:121], a[72:73], 0// 000000004500: D3F3000C 1A029178
	v_mfma_f32_16x16x32_fp8_fp8 v[12:15], a[122:123], a[74:75], v[12:15]// 000000004508: D3F3000C 1C32957A
	buffer_load_dword v68, s[20:23], 0 offen lds               // 000000004510: E0511000 80050044
	s_add_u32 m0, 0xd00, s49                                   // 000000004518: 807C31FF 00000D00
	v_mfma_f32_16x16x32_fp8_fp8 v[12:15], a[124:125], a[76:77], v[12:15]// 000000004520: D3F3000C 1C32997C
	v_mfma_f32_16x16x32_fp8_fp8 v[12:15], a[126:127], a[78:79], v[12:15]// 000000004528: D3F3000C 1C329D7E
	buffer_load_dword v69, s[20:23], 0 offen lds               // 000000004530: E0511000 80050045
	s_add_u32 m0, 0, s48                                       // 000000004538: 807C3080
	v_fma_f32 v104, v8, v4, v104                               // 00000000453C: D1CB0068 05A20908
	v_fma_f32 v105, v9, v4, v105                               // 000000004544: D1CB0069 05A60909
	v_fma_f32 v106, v10, v4, v106                              // 00000000454C: D1CB006A 05AA090A
	v_fma_f32 v107, v11, v4, v107                              // 000000004554: D1CB006B 05AE090B
	v_mul_f32_dpp v4, v24, v52 row_newbcast:0 row_mask:0xf bank_mask:0xf// 00000000455C: 0A0868FA FF015018
	v_mfma_f32_16x16x32_fp8_fp8 v[8:11], a[120:121], a[80:81], 0// 000000004564: D3F30008 1A02A178
	v_mfma_f32_16x16x32_fp8_fp8 v[8:11], a[122:123], a[82:83], v[8:11]// 00000000456C: D3F30008 1C22A57A
	buffer_load_dword v42, v28, s[28:31], 0 offen              // 000000004574: E0501000 80072A1C
	v_mfma_f32_16x16x32_fp8_fp8 v[8:11], a[124:125], a[84:85], v[8:11]// 00000000457C: D3F30008 1C22A97C
	v_mfma_f32_16x16x32_fp8_fp8 v[8:11], a[126:127], a[86:87], v[8:11]// 000000004584: D3F30008 1C22AD7E
	buffer_load_dword v43, v29, s[28:31], 0 offen              // 00000000458C: E0501000 80072B1D
	v_fma_f32 v108, v12, v6, v108                              // 000000004594: D1CB006C 05B20D0C
	v_fma_f32 v109, v13, v6, v109                              // 00000000459C: D1CB006D 05B60D0D
	v_fma_f32 v110, v14, v6, v110                              // 0000000045A4: D1CB006E 05BA0D0E
	v_fma_f32 v111, v15, v6, v111                              // 0000000045AC: D1CB006F 05BE0D0F
	v_mul_f32_dpp v6, v24, v53 row_newbcast:0 row_mask:0xf bank_mask:0xf// 0000000045B4: 0A0C6AFA FF015018
	v_mfma_f32_16x16x32_fp8_fp8 v[12:15], a[120:121], a[88:89], 0// 0000000045BC: D3F3000C 1A02B178
	v_mfma_f32_16x16x32_fp8_fp8 v[12:15], a[122:123], a[90:91], v[12:15]// 0000000045C4: D3F3000C 1C32B57A
	buffer_load_dword v44, v30, s[28:31], 0 offen              // 0000000045CC: E0501000 80072C1E
	v_mfma_f32_16x16x32_fp8_fp8 v[12:15], a[124:125], a[92:93], v[12:15]// 0000000045D4: D3F3000C 1C32B97C
	v_mfma_f32_16x16x32_fp8_fp8 v[12:15], a[126:127], a[94:95], v[12:15]// 0000000045DC: D3F3000C 1C32BD7E
	buffer_load_dword v45, v31, s[28:31], 0 offen              // 0000000045E4: E0501000 80072D1F
	v_fma_f32 v112, v8, v4, v112                               // 0000000045EC: D1CB0070 05C20908
	v_fma_f32 v113, v9, v4, v113                               // 0000000045F4: D1CB0071 05C60909
	v_fma_f32 v114, v10, v4, v114                              // 0000000045FC: D1CB0072 05CA090A
	v_fma_f32 v115, v11, v4, v115                              // 000000004604: D1CB0073 05CE090B
	v_mul_f32_dpp v4, v24, v54 row_newbcast:0 row_mask:0xf bank_mask:0xf// 00000000460C: 0A086CFA FF015018
	v_mfma_f32_16x16x32_fp8_fp8 v[8:11], a[120:121], a[96:97], 0// 000000004614: D3F30008 1A02C178
	v_mfma_f32_16x16x32_fp8_fp8 v[8:11], a[122:123], a[98:99], v[8:11]// 00000000461C: D3F30008 1C22C57A
	buffer_load_dword v46, v32, s[28:31], 0 offen              // 000000004624: E0501000 80072E20
	v_mfma_f32_16x16x32_fp8_fp8 v[8:11], a[124:125], a[100:101], v[8:11]// 00000000462C: D3F30008 1C22C97C
	v_mfma_f32_16x16x32_fp8_fp8 v[8:11], a[126:127], a[102:103], v[8:11]// 000000004634: D3F30008 1C22CD7E
	buffer_load_dword v47, v33, s[28:31], 0 offen              // 00000000463C: E0501000 80072F21
	v_fma_f32 v116, v12, v6, v116                              // 000000004644: D1CB0074 05D20D0C
	v_fma_f32 v117, v13, v6, v117                              // 00000000464C: D1CB0075 05D60D0D
	v_fma_f32 v118, v14, v6, v118                              // 000000004654: D1CB0076 05DA0D0E
	v_fma_f32 v119, v15, v6, v119                              // 00000000465C: D1CB0077 05DE0D0F
	v_mul_f32_dpp v6, v24, v55 row_newbcast:0 row_mask:0xf bank_mask:0xf// 000000004664: 0A0C6EFA FF015018
	v_mfma_f32_16x16x32_fp8_fp8 v[12:15], a[120:121], a[104:105], 0// 00000000466C: D3F3000C 1A02D178
	v_mfma_f32_16x16x32_fp8_fp8 v[12:15], a[122:123], a[106:107], v[12:15]// 000000004674: D3F3000C 1C32D57A
	buffer_load_dword v48, v34, s[28:31], 0 offen              // 00000000467C: E0501000 80073022
	s_add_u32 s60, 0x80, s80                                   // 000000004684: 803C50FF 00000080
	s_cmp_lt_u32 s60, s81                                      // 00000000468C: BF0A513C
	s_cselect_b32 s83, s83, 0                                  // 000000004690: 85538053
	s_cselect_b32 s4, s4, 0                                    // 000000004694: 85048004
	v_mfma_f32_16x16x32_fp8_fp8 v[12:15], a[124:125], a[108:109], v[12:15]// 000000004698: D3F3000C 1C32D97C
	s_add_u32 s32, s4, s32                                     // 0000000046A0: 80202004
	s_addc_u32 s33, 0, s33                                     // 0000000046A4: 82212180
	v_mfma_f32_16x16x32_fp8_fp8 v[12:15], a[126:127], a[110:111], v[12:15]// 0000000046A8: D3F3000C 1C32DD7E
	v_fma_f32 v120, v8, v4, v120                               // 0000000046B0: D1CB0078 05E20908
	v_fma_f32 v121, v9, v4, v121                               // 0000000046B8: D1CB0079 05E60909
	v_fma_f32 v122, v10, v4, v122                              // 0000000046C0: D1CB007A 05EA090A
	v_fma_f32 v123, v11, v4, v123                              // 0000000046C8: D1CB007B 05EE090B
	v_fma_f32 v124, v12, v6, v124                              // 0000000046D0: D1CB007C 05F20D0C
	v_fma_f32 v125, v13, v6, v125                              // 0000000046D8: D1CB007D 05F60D0D
	v_fma_f32 v126, v14, v6, v126                              // 0000000046E0: D1CB007E 05FA0D0E
	v_fma_f32 v127, v15, v6, v127                              // 0000000046E8: D1CB007F 05FE0D0F
	s_waitcnt vmcnt(21)                                        // 0000000046F0: BF8C4F75
	v_mul_f32_dpp v4, v27, v49 row_newbcast:0 row_mask:0xf bank_mask:0xf// 0000000046F4: 0A0862FA FF01501B
	v_mfma_f32_16x16x32_fp8_fp8 v[8:11], a[128:129], a[56:57], 0// 0000000046FC: D3F30008 1A027180
	buffer_load_dword v24, v22, s[32:35], 0 offen              // 000000004704: E0501000 80081816
	v_mfma_f32_16x16x32_fp8_fp8 v[8:11], a[130:131], a[58:59], v[8:11]// 00000000470C: D3F30008 1C227582
	buffer_load_dwordx4 a[112:115], v70, s[24:27], 0 offen     // 000000004714: E05C1000 80867046
	v_mfma_f32_16x16x32_fp8_fp8 v[8:11], a[132:133], a[60:61], v[8:11]// 00000000471C: D3F30008 1C227984
	v_mfma_f32_16x16x32_fp8_fp8 v[8:11], a[134:135], a[62:63], v[8:11]// 000000004724: D3F30008 1C227D86
	ds_read_b128 a[0:3], v2                                    // 00000000472C: DBFE0000 00000002
	ds_read_b128 a[4:7], v2 offset:64                          // 000000004734: DBFE0040 04000002
	v_mfma_f32_16x16x32_fp8_fp8 v[12:15], a[136:137], a[56:57], 0// 00000000473C: D3F3000C 1A027188
	v_mfma_f32_16x16x32_fp8_fp8 v[12:15], a[138:139], a[58:59], v[12:15]// 000000004744: D3F3000C 1C32758A
	buffer_load_dwordx4 a[116:119], v70, s[24:27], 0 offen offset:1024// 00000000474C: E05C1400 80867446
	v_mfma_f32_16x16x32_fp8_fp8 v[12:15], a[140:141], a[60:61], v[12:15]// 000000004754: D3F3000C 1C32798C
	v_mfma_f32_16x16x32_fp8_fp8 v[12:15], a[142:143], a[62:63], v[12:15]// 00000000475C: D3F3000C 1C327D8E
	ds_read_b128 a[8:11], v2 offset:512                        // 000000004764: DBFE0200 08000002
	ds_read_b128 a[12:15], v2 offset:576                       // 00000000476C: DBFE0240 0C000002
	v_fma_f32 v128, v8, v4, v128                               // 000000004774: D1CB0080 06020908
	v_fma_f32 v129, v9, v4, v129                               // 00000000477C: D1CB0081 06060909
	v_fma_f32 v130, v10, v4, v130                              // 000000004784: D1CB0082 060A090A
	v_fma_f32 v131, v11, v4, v131                              // 00000000478C: D1CB0083 060E090B
	v_mul_f32_dpp v6, v27, v50 row_newbcast:0 row_mask:0xf bank_mask:0xf// 000000004794: 0A0C64FA FF01501B
	v_mfma_f32_16x16x32_fp8_fp8 v[8:11], a[128:129], a[64:65], 0// 00000000479C: D3F30008 1A028180
	v_mfma_f32_16x16x32_fp8_fp8 v[8:11], a[130:131], a[66:67], v[8:11]// 0000000047A4: D3F30008 1C228582
	buffer_load_dwordx4 a[120:123], v71, s[24:27], 0 offen     // 0000000047AC: E05C1000 80867847
	v_mfma_f32_16x16x32_fp8_fp8 v[8:11], a[132:133], a[68:69], v[8:11]// 0000000047B4: D3F30008 1C228984
	v_mfma_f32_16x16x32_fp8_fp8 v[8:11], a[134:135], a[70:71], v[8:11]// 0000000047BC: D3F30008 1C228D86
	ds_read_b128 a[16:19], v2 offset:1024                      // 0000000047C4: DBFE0400 10000002
	ds_read_b128 a[20:23], v2 offset:1088                      // 0000000047CC: DBFE0440 14000002
	v_fma_f32 v156, v12, v4, v156                              // 0000000047D4: D1CB009C 0672090C
	v_fma_f32 v157, v13, v4, v157                              // 0000000047DC: D1CB009D 0676090D
	v_fma_f32 v158, v14, v4, v158                              // 0000000047E4: D1CB009E 067A090E
	v_fma_f32 v159, v15, v4, v159                              // 0000000047EC: D1CB009F 067E090F
	v_mfma_f32_16x16x32_fp8_fp8 v[12:15], a[136:137], a[64:65], 0// 0000000047F4: D3F3000C 1A028188
	v_mfma_f32_16x16x32_fp8_fp8 v[12:15], a[138:139], a[66:67], v[12:15]// 0000000047FC: D3F3000C 1C32858A
	buffer_load_dwordx4 a[124:127], v71, s[24:27], 0 offen offset:1024// 000000004804: E05C1400 80867C47
	v_mfma_f32_16x16x32_fp8_fp8 v[12:15], a[140:141], a[68:69], v[12:15]// 00000000480C: D3F3000C 1C32898C
	v_mfma_f32_16x16x32_fp8_fp8 v[12:15], a[142:143], a[70:71], v[12:15]// 000000004814: D3F3000C 1C328D8E
	ds_read_b128 a[24:27], v2 offset:1536                      // 00000000481C: DBFE0600 18000002
	ds_read_b128 a[28:31], v2 offset:1600                      // 000000004824: DBFE0640 1C000002
	v_fma_f32 v132, v8, v6, v132                               // 00000000482C: D1CB0084 06120D08
	v_fma_f32 v133, v9, v6, v133                               // 000000004834: D1CB0085 06160D09
	v_fma_f32 v134, v10, v6, v134                              // 00000000483C: D1CB0086 061A0D0A
	v_fma_f32 v135, v11, v6, v135                              // 000000004844: D1CB0087 061E0D0B
	v_mul_f32_dpp v4, v27, v51 row_newbcast:0 row_mask:0xf bank_mask:0xf// 00000000484C: 0A0866FA FF01501B
	v_mfma_f32_16x16x32_fp8_fp8 v[8:11], a[128:129], a[72:73], 0// 000000004854: D3F30008 1A029180
	v_mfma_f32_16x16x32_fp8_fp8 v[8:11], a[130:131], a[74:75], v[8:11]// 00000000485C: D3F30008 1C229582
	v_mfma_f32_16x16x32_fp8_fp8 v[8:11], a[132:133], a[76:77], v[8:11]// 000000004864: D3F30008 1C229984
	v_mfma_f32_16x16x32_fp8_fp8 v[8:11], a[134:135], a[78:79], v[8:11]// 00000000486C: D3F30008 1C229D86
	ds_read_b128 a[32:35], v2 offset:2048                      // 000000004874: DBFE0800 20000002
	ds_read_b128 a[36:39], v2 offset:2112                      // 00000000487C: DBFE0840 24000002
	v_fma_f32 v160, v12, v6, v160                              // 000000004884: D1CB00A0 06820D0C
	v_fma_f32 v161, v13, v6, v161                              // 00000000488C: D1CB00A1 06860D0D
	v_fma_f32 v162, v14, v6, v162                              // 000000004894: D1CB00A2 068A0D0E
	v_fma_f32 v163, v15, v6, v163                              // 00000000489C: D1CB00A3 068E0D0F
	v_mfma_f32_16x16x32_fp8_fp8 v[12:15], a[136:137], a[72:73], 0// 0000000048A4: D3F3000C 1A029188
	v_mfma_f32_16x16x32_fp8_fp8 v[12:15], a[138:139], a[74:75], v[12:15]// 0000000048AC: D3F3000C 1C32958A
	v_mfma_f32_16x16x32_fp8_fp8 v[12:15], a[140:141], a[76:77], v[12:15]// 0000000048B4: D3F3000C 1C32998C
	v_mfma_f32_16x16x32_fp8_fp8 v[12:15], a[142:143], a[78:79], v[12:15]// 0000000048BC: D3F3000C 1C329D8E
	ds_read_b128 a[40:43], v2 offset:2560                      // 0000000048C4: DBFE0A00 28000002
	ds_read_b128 a[44:47], v2 offset:2624                      // 0000000048CC: DBFE0A40 2C000002
	v_fma_f32 v136, v8, v4, v136                               // 0000000048D4: D1CB0088 06220908
	v_fma_f32 v137, v9, v4, v137                               // 0000000048DC: D1CB0089 06260909
	v_fma_f32 v138, v10, v4, v138                              // 0000000048E4: D1CB008A 062A090A
	v_fma_f32 v139, v11, v4, v139                              // 0000000048EC: D1CB008B 062E090B
	v_mul_f32_dpp v6, v27, v52 row_newbcast:0 row_mask:0xf bank_mask:0xf// 0000000048F4: 0A0C68FA FF01501B
	v_mfma_f32_16x16x32_fp8_fp8 v[8:11], a[128:129], a[80:81], 0// 0000000048FC: D3F30008 1A02A180
	v_mfma_f32_16x16x32_fp8_fp8 v[8:11], a[130:131], a[82:83], v[8:11]// 000000004904: D3F30008 1C22A582
	v_mfma_f32_16x16x32_fp8_fp8 v[8:11], a[132:133], a[84:85], v[8:11]// 00000000490C: D3F30008 1C22A984
	v_mfma_f32_16x16x32_fp8_fp8 v[8:11], a[134:135], a[86:87], v[8:11]// 000000004914: D3F30008 1C22AD86
	ds_read_b128 a[48:51], v2 offset:3072                      // 00000000491C: DBFE0C00 30000002
	ds_read_b128 a[52:55], v2 offset:3136                      // 000000004924: DBFE0C40 34000002
	v_fma_f32 v164, v12, v4, v164                              // 00000000492C: D1CB00A4 0692090C
	v_fma_f32 v165, v13, v4, v165                              // 000000004934: D1CB00A5 0696090D
	v_fma_f32 v166, v14, v4, v166                              // 00000000493C: D1CB00A6 069A090E
	v_fma_f32 v167, v15, v4, v167                              // 000000004944: D1CB00A7 069E090F
	v_mfma_f32_16x16x32_fp8_fp8 v[12:15], a[136:137], a[80:81], 0// 00000000494C: D3F3000C 1A02A188
	v_mfma_f32_16x16x32_fp8_fp8 v[12:15], a[138:139], a[82:83], v[12:15]// 000000004954: D3F3000C 1C32A58A
	v_mfma_f32_16x16x32_fp8_fp8 v[12:15], a[140:141], a[84:85], v[12:15]// 00000000495C: D3F3000C 1C32A98C
	v_mfma_f32_16x16x32_fp8_fp8 v[12:15], a[142:143], a[86:87], v[12:15]// 000000004964: D3F3000C 1C32AD8E
	v_fma_f32 v140, v8, v6, v140                               // 00000000496C: D1CB008C 06320D08
	v_fma_f32 v141, v9, v6, v141                               // 000000004974: D1CB008D 06360D09
	v_fma_f32 v142, v10, v6, v142                              // 00000000497C: D1CB008E 063A0D0A
	v_fma_f32 v143, v11, v6, v143                              // 000000004984: D1CB008F 063E0D0B
	v_mul_f32_dpp v4, v27, v53 row_newbcast:0 row_mask:0xf bank_mask:0xf// 00000000498C: 0A086AFA FF01501B
	v_mfma_f32_16x16x32_fp8_fp8 v[8:11], a[128:129], a[88:89], 0// 000000004994: D3F30008 1A02B180
	v_mfma_f32_16x16x32_fp8_fp8 v[8:11], a[130:131], a[90:91], v[8:11]// 00000000499C: D3F30008 1C22B582
	v_mfma_f32_16x16x32_fp8_fp8 v[8:11], a[132:133], a[92:93], v[8:11]// 0000000049A4: D3F30008 1C22B984
	v_mfma_f32_16x16x32_fp8_fp8 v[8:11], a[134:135], a[94:95], v[8:11]// 0000000049AC: D3F30008 1C22BD86
	v_fma_f32 v168, v12, v6, v168                              // 0000000049B4: D1CB00A8 06A20D0C
	v_fma_f32 v169, v13, v6, v169                              // 0000000049BC: D1CB00A9 06A60D0D
	v_fma_f32 v170, v14, v6, v170                              // 0000000049C4: D1CB00AA 06AA0D0E
	v_fma_f32 v171, v15, v6, v171                              // 0000000049CC: D1CB00AB 06AE0D0F
	v_mfma_f32_16x16x32_fp8_fp8 v[12:15], a[136:137], a[88:89], 0// 0000000049D4: D3F3000C 1A02B188
	v_mfma_f32_16x16x32_fp8_fp8 v[12:15], a[138:139], a[90:91], v[12:15]// 0000000049DC: D3F3000C 1C32B58A
	v_mfma_f32_16x16x32_fp8_fp8 v[12:15], a[140:141], a[92:93], v[12:15]// 0000000049E4: D3F3000C 1C32B98C
	v_mfma_f32_16x16x32_fp8_fp8 v[12:15], a[142:143], a[94:95], v[12:15]// 0000000049EC: D3F3000C 1C32BD8E
	v_fma_f32 v144, v8, v4, v144                               // 0000000049F4: D1CB0090 06420908
	v_fma_f32 v145, v9, v4, v145                               // 0000000049FC: D1CB0091 06460909
	v_fma_f32 v146, v10, v4, v146                              // 000000004A04: D1CB0092 064A090A
	v_fma_f32 v147, v11, v4, v147                              // 000000004A0C: D1CB0093 064E090B
	v_mul_f32_dpp v6, v27, v54 row_newbcast:0 row_mask:0xf bank_mask:0xf// 000000004A14: 0A0C6CFA FF01501B
	v_mfma_f32_16x16x32_fp8_fp8 v[8:11], a[128:129], a[96:97], 0// 000000004A1C: D3F30008 1A02C180
	v_mfma_f32_16x16x32_fp8_fp8 v[8:11], a[130:131], a[98:99], v[8:11]// 000000004A24: D3F30008 1C22C582
	v_mfma_f32_16x16x32_fp8_fp8 v[8:11], a[132:133], a[100:101], v[8:11]// 000000004A2C: D3F30008 1C22C984
	v_mfma_f32_16x16x32_fp8_fp8 v[8:11], a[134:135], a[102:103], v[8:11]// 000000004A34: D3F30008 1C22CD86
	v_fma_f32 v172, v12, v4, v172                              // 000000004A3C: D1CB00AC 06B2090C
	v_fma_f32 v173, v13, v4, v173                              // 000000004A44: D1CB00AD 06B6090D
	v_fma_f32 v174, v14, v4, v174                              // 000000004A4C: D1CB00AE 06BA090E
	v_fma_f32 v175, v15, v4, v175                              // 000000004A54: D1CB00AF 06BE090F
	v_mfma_f32_16x16x32_fp8_fp8 v[12:15], a[136:137], a[96:97], 0// 000000004A5C: D3F3000C 1A02C188
	v_mfma_f32_16x16x32_fp8_fp8 v[12:15], a[138:139], a[98:99], v[12:15]// 000000004A64: D3F3000C 1C32C58A
	v_mfma_f32_16x16x32_fp8_fp8 v[12:15], a[140:141], a[100:101], v[12:15]// 000000004A6C: D3F3000C 1C32C98C
	v_mfma_f32_16x16x32_fp8_fp8 v[12:15], a[142:143], a[102:103], v[12:15]// 000000004A74: D3F3000C 1C32CD8E
	v_fma_f32 v148, v8, v6, v148                               // 000000004A7C: D1CB0094 06520D08
	v_fma_f32 v149, v9, v6, v149                               // 000000004A84: D1CB0095 06560D09
	v_fma_f32 v150, v10, v6, v150                              // 000000004A8C: D1CB0096 065A0D0A
	v_fma_f32 v151, v11, v6, v151                              // 000000004A94: D1CB0097 065E0D0B
	v_mul_f32_dpp v4, v27, v55 row_newbcast:0 row_mask:0xf bank_mask:0xf// 000000004A9C: 0A086EFA FF01501B
	v_mfma_f32_16x16x32_fp8_fp8 v[8:11], a[128:129], a[104:105], 0// 000000004AA4: D3F30008 1A02D180
	v_mfma_f32_16x16x32_fp8_fp8 v[8:11], a[130:131], a[106:107], v[8:11]// 000000004AAC: D3F30008 1C22D582
	v_mfma_f32_16x16x32_fp8_fp8 v[8:11], a[132:133], a[108:109], v[8:11]// 000000004AB4: D3F30008 1C22D984
	s_add_u32 s60, 0x180, s80                                  // 000000004ABC: 803C50FF 00000180
	s_cmp_lt_u32 s60, s81                                      // 000000004AC4: BF0A513C
	s_cselect_b32 s57, s57, 0                                  // 000000004AC8: 85398039
	s_cselect_b32 s3, s3, 0                                    // 000000004ACC: 85038003
	v_mfma_f32_16x16x32_fp8_fp8 v[8:11], a[134:135], a[110:111], v[8:11]// 000000004AD0: D3F30008 1C22DD86
	s_add_u32 s60, 0x100, s80                                  // 000000004AD8: 803C50FF 00000100
	s_cmp_lt_u32 s60, s81                                      // 000000004AE0: BF0A513C
	s_cselect_b32 s58, s58, 0                                  // 000000004AE4: 853A803A
	v_fma_f32 v176, v12, v6, v176                              // 000000004AE8: D1CB00B0 06C20D0C
	v_fma_f32 v177, v13, v6, v177                              // 000000004AF0: D1CB00B1 06C60D0D
	v_fma_f32 v178, v14, v6, v178                              // 000000004AF8: D1CB00B2 06CA0D0E
	v_fma_f32 v179, v15, v6, v179                              // 000000004B00: D1CB00B3 06CE0D0F
	v_mfma_f32_16x16x32_fp8_fp8 v[12:15], a[136:137], a[104:105], 0// 000000004B08: D3F3000C 1A02D188
	s_add_u32 s24, s58, s24                                    // 000000004B10: 8018183A
	s_addc_u32 s25, 0, s25                                     // 000000004B14: 82191980
	v_mfma_f32_16x16x32_fp8_fp8 v[12:15], a[138:139], a[106:107], v[12:15]// 000000004B18: D3F3000C 1C32D58A
	s_add_u32 s20, s57, s20                                    // 000000004B20: 80141439
	s_addc_u32 s21, 0, s21                                     // 000000004B24: 82151580
	s_add_u32 s28, s3, s28                                     // 000000004B28: 801C1C03
	s_addc_u32 s29, 0, s29                                     // 000000004B2C: 821D1D80
	v_mfma_f32_16x16x32_fp8_fp8 v[12:15], a[140:141], a[108:109], v[12:15]// 000000004B30: D3F3000C 1C32D98C
	s_add_u32 s84, s83, s84                                    // 000000004B38: 80545453
	s_addc_u32 s85, 0, s85                                     // 000000004B3C: 82555580
	v_mfma_f32_16x16x32_fp8_fp8 v[12:15], a[142:143], a[110:111], v[12:15]// 000000004B40: D3F3000C 1C32DD8E
	v_fma_f32 v152, v8, v4, v152                               // 000000004B48: D1CB0098 06620908
	v_fma_f32 v153, v9, v4, v153                               // 000000004B50: D1CB0099 06660909
	v_fma_f32 v154, v10, v4, v154                              // 000000004B58: D1CB009A 066A090A
	v_fma_f32 v155, v11, v4, v155                              // 000000004B60: D1CB009B 066E090B
	v_fma_f32 v180, v12, v4, v180                              // 000000004B68: D1CB00B4 06D2090C
	v_fma_f32 v181, v13, v4, v181                              // 000000004B70: D1CB00B5 06D6090D
	v_fma_f32 v182, v14, v4, v182                              // 000000004B78: D1CB00B6 06DA090E
	v_fma_f32 v183, v15, v4, v183                              // 000000004B80: D1CB00B7 06DE090F
	s_addk_i32 s80, 0x80                                       // 000000004B88: B7500080
	s_cmp_lt_i32 s80, s81                                      // 000000004B8C: BF045150
	s_cbranch_scc0 label_0866                                  // 000000004B90: BF840001
	s_branch label_035B                                        // 000000004B94: BF82FAF5

0000000000004b98 <label_0866>:
	s_cmp_eq_u32 s88, 0                                        // 000000004B98: BF068058
	s_cbranch_scc0 label_11CE                                  // 000000004B9C: BF840966
	s_cmp_eq_u32 s89, 0                                        // 000000004BA0: BF068059
	s_cbranch_scc1 label_0A9F                                  // 000000004BA4: BF850235
	v_mov_b32_e32 v8, v1                                       // 000000004BA8: 7E100301
	v_mov_b32_e32 v9, v1                                       // 000000004BAC: 7E120301
	s_mov_b32 s60, s6                                          // 000000004BB0: BEBC0006
	s_mov_b32 s61, s6                                          // 000000004BB4: BEBD0006
	v_pk_mul_f32 v[4:5], v[72:73], v[72:73]                    // 000000004BB8: D3B14004 18029148
	v_pk_mul_f32 v[6:7], v[74:75], v[74:75]                    // 000000004BC0: D3B14006 1802954A
	v_pk_fma_f32 v[4:5], v[4:5], s[78:79], v[8:9]              // 000000004BC8: D3B04004 1C209D04
	v_pk_fma_f32 v[6:7], v[6:7], s[78:79], v[8:9]              // 000000004BD0: D3B04006 1C209D06
	v_pk_mul_f32 v[4:5], v[4:5], v[72:73]                      // 000000004BD8: D3B14004 18029104
	v_pk_mul_f32 v[6:7], v[6:7], v[74:75]                      // 000000004BE0: D3B14006 18029506
	v_pk_mul_f32 v[4:5], v[4:5], s[60:61]                      // 000000004BE8: D3B14004 18007904
	v_pk_mul_f32 v[6:7], v[6:7], s[60:61]                      // 000000004BF0: D3B14006 18007906
	v_exp_f32_e32 v4, v4                                       // 000000004BF8: 7E084104
	v_exp_f32_e32 v5, v5                                       // 000000004BFC: 7E0A4105
	v_exp_f32_e32 v6, v6                                       // 000000004C00: 7E0C4106
	v_exp_f32_e32 v7, v7                                       // 000000004C04: 7E0E4107
	v_add_f32_e64 v4, v4, 1.0                                  // 000000004C08: D1010004 0001E504
	v_add_f32_e64 v5, v5, 1.0                                  // 000000004C10: D1010005 0001E505
	v_add_f32_e64 v6, v6, 1.0                                  // 000000004C18: D1010006 0001E506
	v_add_f32_e64 v7, v7, 1.0                                  // 000000004C20: D1010007 0001E507
	v_rcp_f32_e32 v4, v4                                       // 000000004C28: 7E084504
	v_rcp_f32_e32 v5, v5                                       // 000000004C2C: 7E0A4505
	v_rcp_f32_e32 v6, v6                                       // 000000004C30: 7E0C4506
	v_rcp_f32_e32 v7, v7                                       // 000000004C34: 7E0E4507
	v_mul_f32_e32 v72, v72, v4                                 // 000000004C38: 0A900948
	v_mul_f32_e32 v73, v73, v5                                 // 000000004C3C: 0A920B49
	v_mul_f32_e32 v74, v74, v6                                 // 000000004C40: 0A940D4A
	v_mul_f32_e32 v75, v75, v7                                 // 000000004C44: 0A960F4B
	v_mul_f32_e32 v72, v72, v128                               // 000000004C48: 0A910148
	v_mul_f32_e32 v73, v73, v129                               // 000000004C4C: 0A930349
	v_mul_f32_e32 v74, v74, v130                               // 000000004C50: 0A95054A
	v_mul_f32_e32 v75, v75, v131                               // 000000004C54: 0A97074B
	v_pk_mul_f32 v[4:5], v[76:77], v[76:77]                    // 000000004C58: D3B14004 1802994C
	v_pk_mul_f32 v[6:7], v[78:79], v[78:79]                    // 000000004C60: D3B14006 18029D4E
	v_pk_fma_f32 v[4:5], v[4:5], s[78:79], v[8:9]              // 000000004C68: D3B04004 1C209D04
	v_pk_fma_f32 v[6:7], v[6:7], s[78:79], v[8:9]              // 000000004C70: D3B04006 1C209D06
	v_pk_mul_f32 v[4:5], v[4:5], v[76:77]                      // 000000004C78: D3B14004 18029904
	v_pk_mul_f32 v[6:7], v[6:7], v[78:79]                      // 000000004C80: D3B14006 18029D06
	v_pk_mul_f32 v[4:5], v[4:5], s[60:61]                      // 000000004C88: D3B14004 18007904
	v_pk_mul_f32 v[6:7], v[6:7], s[60:61]                      // 000000004C90: D3B14006 18007906
	v_exp_f32_e32 v4, v4                                       // 000000004C98: 7E084104
	v_exp_f32_e32 v5, v5                                       // 000000004C9C: 7E0A4105
	v_exp_f32_e32 v6, v6                                       // 000000004CA0: 7E0C4106
	v_exp_f32_e32 v7, v7                                       // 000000004CA4: 7E0E4107
	v_add_f32_e64 v4, v4, 1.0                                  // 000000004CA8: D1010004 0001E504
	v_add_f32_e64 v5, v5, 1.0                                  // 000000004CB0: D1010005 0001E505
	v_add_f32_e64 v6, v6, 1.0                                  // 000000004CB8: D1010006 0001E506
	v_add_f32_e64 v7, v7, 1.0                                  // 000000004CC0: D1010007 0001E507
	v_rcp_f32_e32 v4, v4                                       // 000000004CC8: 7E084504
	v_rcp_f32_e32 v5, v5                                       // 000000004CCC: 7E0A4505
	v_rcp_f32_e32 v6, v6                                       // 000000004CD0: 7E0C4506
	v_rcp_f32_e32 v7, v7                                       // 000000004CD4: 7E0E4507
	v_mul_f32_e32 v76, v76, v4                                 // 000000004CD8: 0A98094C
	v_mul_f32_e32 v77, v77, v5                                 // 000000004CDC: 0A9A0B4D
	v_mul_f32_e32 v78, v78, v6                                 // 000000004CE0: 0A9C0D4E
	v_mul_f32_e32 v79, v79, v7                                 // 000000004CE4: 0A9E0F4F
	v_mul_f32_e32 v76, v76, v132                               // 000000004CE8: 0A99094C
	v_mul_f32_e32 v77, v77, v133                               // 000000004CEC: 0A9B0B4D
	v_mul_f32_e32 v78, v78, v134                               // 000000004CF0: 0A9D0D4E
	v_mul_f32_e32 v79, v79, v135                               // 000000004CF4: 0A9F0F4F
	v_pk_mul_f32 v[4:5], v[80:81], v[80:81]                    // 000000004CF8: D3B14004 1802A150
	v_pk_mul_f32 v[6:7], v[82:83], v[82:83]                    // 000000004D00: D3B14006 1802A552
	v_pk_fma_f32 v[4:5], v[4:5], s[78:79], v[8:9]              // 000000004D08: D3B04004 1C209D04
	v_pk_fma_f32 v[6:7], v[6:7], s[78:79], v[8:9]              // 000000004D10: D3B04006 1C209D06
	v_pk_mul_f32 v[4:5], v[4:5], v[80:81]                      // 000000004D18: D3B14004 1802A104
	v_pk_mul_f32 v[6:7], v[6:7], v[82:83]                      // 000000004D20: D3B14006 1802A506
	v_pk_mul_f32 v[4:5], v[4:5], s[60:61]                      // 000000004D28: D3B14004 18007904
	v_pk_mul_f32 v[6:7], v[6:7], s[60:61]                      // 000000004D30: D3B14006 18007906
	v_exp_f32_e32 v4, v4                                       // 000000004D38: 7E084104
	v_exp_f32_e32 v5, v5                                       // 000000004D3C: 7E0A4105
	v_exp_f32_e32 v6, v6                                       // 000000004D40: 7E0C4106
	v_exp_f32_e32 v7, v7                                       // 000000004D44: 7E0E4107
	v_add_f32_e64 v4, v4, 1.0                                  // 000000004D48: D1010004 0001E504
	v_add_f32_e64 v5, v5, 1.0                                  // 000000004D50: D1010005 0001E505
	v_add_f32_e64 v6, v6, 1.0                                  // 000000004D58: D1010006 0001E506
	v_add_f32_e64 v7, v7, 1.0                                  // 000000004D60: D1010007 0001E507
	v_rcp_f32_e32 v4, v4                                       // 000000004D68: 7E084504
	v_rcp_f32_e32 v5, v5                                       // 000000004D6C: 7E0A4505
	v_rcp_f32_e32 v6, v6                                       // 000000004D70: 7E0C4506
	v_rcp_f32_e32 v7, v7                                       // 000000004D74: 7E0E4507
	v_mul_f32_e32 v80, v80, v4                                 // 000000004D78: 0AA00950
	v_mul_f32_e32 v81, v81, v5                                 // 000000004D7C: 0AA20B51
	v_mul_f32_e32 v82, v82, v6                                 // 000000004D80: 0AA40D52
	v_mul_f32_e32 v83, v83, v7                                 // 000000004D84: 0AA60F53
	v_mul_f32_e32 v80, v80, v136                               // 000000004D88: 0AA11150
	v_mul_f32_e32 v81, v81, v137                               // 000000004D8C: 0AA31351
	v_mul_f32_e32 v82, v82, v138                               // 000000004D90: 0AA51552
	v_mul_f32_e32 v83, v83, v139                               // 000000004D94: 0AA71753
	v_pk_mul_f32 v[4:5], v[84:85], v[84:85]                    // 000000004D98: D3B14004 1802A954
	v_pk_mul_f32 v[6:7], v[86:87], v[86:87]                    // 000000004DA0: D3B14006 1802AD56
	v_pk_fma_f32 v[4:5], v[4:5], s[78:79], v[8:9]              // 000000004DA8: D3B04004 1C209D04
	v_pk_fma_f32 v[6:7], v[6:7], s[78:79], v[8:9]              // 000000004DB0: D3B04006 1C209D06
	v_pk_mul_f32 v[4:5], v[4:5], v[84:85]                      // 000000004DB8: D3B14004 1802A904
	v_pk_mul_f32 v[6:7], v[6:7], v[86:87]                      // 000000004DC0: D3B14006 1802AD06
	v_pk_mul_f32 v[4:5], v[4:5], s[60:61]                      // 000000004DC8: D3B14004 18007904
	v_pk_mul_f32 v[6:7], v[6:7], s[60:61]                      // 000000004DD0: D3B14006 18007906
	v_exp_f32_e32 v4, v4                                       // 000000004DD8: 7E084104
	v_exp_f32_e32 v5, v5                                       // 000000004DDC: 7E0A4105
	v_exp_f32_e32 v6, v6                                       // 000000004DE0: 7E0C4106
	v_exp_f32_e32 v7, v7                                       // 000000004DE4: 7E0E4107
	v_add_f32_e64 v4, v4, 1.0                                  // 000000004DE8: D1010004 0001E504
	v_add_f32_e64 v5, v5, 1.0                                  // 000000004DF0: D1010005 0001E505
	v_add_f32_e64 v6, v6, 1.0                                  // 000000004DF8: D1010006 0001E506
	v_add_f32_e64 v7, v7, 1.0                                  // 000000004E00: D1010007 0001E507
	v_rcp_f32_e32 v4, v4                                       // 000000004E08: 7E084504
	v_rcp_f32_e32 v5, v5                                       // 000000004E0C: 7E0A4505
	v_rcp_f32_e32 v6, v6                                       // 000000004E10: 7E0C4506
	v_rcp_f32_e32 v7, v7                                       // 000000004E14: 7E0E4507
	v_mul_f32_e32 v84, v84, v4                                 // 000000004E18: 0AA80954
	v_mul_f32_e32 v85, v85, v5                                 // 000000004E1C: 0AAA0B55
	v_mul_f32_e32 v86, v86, v6                                 // 000000004E20: 0AAC0D56
	v_mul_f32_e32 v87, v87, v7                                 // 000000004E24: 0AAE0F57
	v_mul_f32_e32 v84, v84, v140                               // 000000004E28: 0AA91954
	v_mul_f32_e32 v85, v85, v141                               // 000000004E2C: 0AAB1B55
	v_mul_f32_e32 v86, v86, v142                               // 000000004E30: 0AAD1D56
	v_mul_f32_e32 v87, v87, v143                               // 000000004E34: 0AAF1F57
	v_pk_mul_f32 v[4:5], v[88:89], v[88:89]                    // 000000004E38: D3B14004 1802B158
	v_pk_mul_f32 v[6:7], v[90:91], v[90:91]                    // 000000004E40: D3B14006 1802B55A
	v_pk_fma_f32 v[4:5], v[4:5], s[78:79], v[8:9]              // 000000004E48: D3B04004 1C209D04
	v_pk_fma_f32 v[6:7], v[6:7], s[78:79], v[8:9]              // 000000004E50: D3B04006 1C209D06
	v_pk_mul_f32 v[4:5], v[4:5], v[88:89]                      // 000000004E58: D3B14004 1802B104
	v_pk_mul_f32 v[6:7], v[6:7], v[90:91]                      // 000000004E60: D3B14006 1802B506
	v_pk_mul_f32 v[4:5], v[4:5], s[60:61]                      // 000000004E68: D3B14004 18007904
	v_pk_mul_f32 v[6:7], v[6:7], s[60:61]                      // 000000004E70: D3B14006 18007906
	v_exp_f32_e32 v4, v4                                       // 000000004E78: 7E084104
	v_exp_f32_e32 v5, v5                                       // 000000004E7C: 7E0A4105
	v_exp_f32_e32 v6, v6                                       // 000000004E80: 7E0C4106
	v_exp_f32_e32 v7, v7                                       // 000000004E84: 7E0E4107
	v_add_f32_e64 v4, v4, 1.0                                  // 000000004E88: D1010004 0001E504
	v_add_f32_e64 v5, v5, 1.0                                  // 000000004E90: D1010005 0001E505
	v_add_f32_e64 v6, v6, 1.0                                  // 000000004E98: D1010006 0001E506
	v_add_f32_e64 v7, v7, 1.0                                  // 000000004EA0: D1010007 0001E507
	v_rcp_f32_e32 v4, v4                                       // 000000004EA8: 7E084504
	v_rcp_f32_e32 v5, v5                                       // 000000004EAC: 7E0A4505
	v_rcp_f32_e32 v6, v6                                       // 000000004EB0: 7E0C4506
	v_rcp_f32_e32 v7, v7                                       // 000000004EB4: 7E0E4507
	v_mul_f32_e32 v88, v88, v4                                 // 000000004EB8: 0AB00958
	v_mul_f32_e32 v89, v89, v5                                 // 000000004EBC: 0AB20B59
	v_mul_f32_e32 v90, v90, v6                                 // 000000004EC0: 0AB40D5A
	v_mul_f32_e32 v91, v91, v7                                 // 000000004EC4: 0AB60F5B
	v_mul_f32_e32 v88, v88, v144                               // 000000004EC8: 0AB12158
	v_mul_f32_e32 v89, v89, v145                               // 000000004ECC: 0AB32359
	v_mul_f32_e32 v90, v90, v146                               // 000000004ED0: 0AB5255A
	v_mul_f32_e32 v91, v91, v147                               // 000000004ED4: 0AB7275B
	v_pk_mul_f32 v[4:5], v[92:93], v[92:93]                    // 000000004ED8: D3B14004 1802B95C
	v_pk_mul_f32 v[6:7], v[94:95], v[94:95]                    // 000000004EE0: D3B14006 1802BD5E
	v_pk_fma_f32 v[4:5], v[4:5], s[78:79], v[8:9]              // 000000004EE8: D3B04004 1C209D04
	v_pk_fma_f32 v[6:7], v[6:7], s[78:79], v[8:9]              // 000000004EF0: D3B04006 1C209D06
	v_pk_mul_f32 v[4:5], v[4:5], v[92:93]                      // 000000004EF8: D3B14004 1802B904
	v_pk_mul_f32 v[6:7], v[6:7], v[94:95]                      // 000000004F00: D3B14006 1802BD06
	v_pk_mul_f32 v[4:5], v[4:5], s[60:61]                      // 000000004F08: D3B14004 18007904
	v_pk_mul_f32 v[6:7], v[6:7], s[60:61]                      // 000000004F10: D3B14006 18007906
	v_exp_f32_e32 v4, v4                                       // 000000004F18: 7E084104
	v_exp_f32_e32 v5, v5                                       // 000000004F1C: 7E0A4105
	v_exp_f32_e32 v6, v6                                       // 000000004F20: 7E0C4106
	v_exp_f32_e32 v7, v7                                       // 000000004F24: 7E0E4107
	v_add_f32_e64 v4, v4, 1.0                                  // 000000004F28: D1010004 0001E504
	v_add_f32_e64 v5, v5, 1.0                                  // 000000004F30: D1010005 0001E505
	v_add_f32_e64 v6, v6, 1.0                                  // 000000004F38: D1010006 0001E506
	v_add_f32_e64 v7, v7, 1.0                                  // 000000004F40: D1010007 0001E507
	v_rcp_f32_e32 v4, v4                                       // 000000004F48: 7E084504
	v_rcp_f32_e32 v5, v5                                       // 000000004F4C: 7E0A4505
	v_rcp_f32_e32 v6, v6                                       // 000000004F50: 7E0C4506
	v_rcp_f32_e32 v7, v7                                       // 000000004F54: 7E0E4507
	v_mul_f32_e32 v92, v92, v4                                 // 000000004F58: 0AB8095C
	v_mul_f32_e32 v93, v93, v5                                 // 000000004F5C: 0ABA0B5D
	v_mul_f32_e32 v94, v94, v6                                 // 000000004F60: 0ABC0D5E
	v_mul_f32_e32 v95, v95, v7                                 // 000000004F64: 0ABE0F5F
	v_mul_f32_e32 v92, v92, v148                               // 000000004F68: 0AB9295C
	v_mul_f32_e32 v93, v93, v149                               // 000000004F6C: 0ABB2B5D
	v_mul_f32_e32 v94, v94, v150                               // 000000004F70: 0ABD2D5E
	v_mul_f32_e32 v95, v95, v151                               // 000000004F74: 0ABF2F5F
	v_pk_mul_f32 v[4:5], v[96:97], v[96:97]                    // 000000004F78: D3B14004 1802C160
	v_pk_mul_f32 v[6:7], v[98:99], v[98:99]                    // 000000004F80: D3B14006 1802C562
	v_pk_fma_f32 v[4:5], v[4:5], s[78:79], v[8:9]              // 000000004F88: D3B04004 1C209D04
	v_pk_fma_f32 v[6:7], v[6:7], s[78:79], v[8:9]              // 000000004F90: D3B04006 1C209D06
	v_pk_mul_f32 v[4:5], v[4:5], v[96:97]                      // 000000004F98: D3B14004 1802C104
	v_pk_mul_f32 v[6:7], v[6:7], v[98:99]                      // 000000004FA0: D3B14006 1802C506
	v_pk_mul_f32 v[4:5], v[4:5], s[60:61]                      // 000000004FA8: D3B14004 18007904
	v_pk_mul_f32 v[6:7], v[6:7], s[60:61]                      // 000000004FB0: D3B14006 18007906
	v_exp_f32_e32 v4, v4                                       // 000000004FB8: 7E084104
	v_exp_f32_e32 v5, v5                                       // 000000004FBC: 7E0A4105
	v_exp_f32_e32 v6, v6                                       // 000000004FC0: 7E0C4106
	v_exp_f32_e32 v7, v7                                       // 000000004FC4: 7E0E4107
	v_add_f32_e64 v4, v4, 1.0                                  // 000000004FC8: D1010004 0001E504
	v_add_f32_e64 v5, v5, 1.0                                  // 000000004FD0: D1010005 0001E505
	v_add_f32_e64 v6, v6, 1.0                                  // 000000004FD8: D1010006 0001E506
	v_add_f32_e64 v7, v7, 1.0                                  // 000000004FE0: D1010007 0001E507
	v_rcp_f32_e32 v4, v4                                       // 000000004FE8: 7E084504
	v_rcp_f32_e32 v5, v5                                       // 000000004FEC: 7E0A4505
	v_rcp_f32_e32 v6, v6                                       // 000000004FF0: 7E0C4506
	v_rcp_f32_e32 v7, v7                                       // 000000004FF4: 7E0E4507
	v_mul_f32_e32 v96, v96, v4                                 // 000000004FF8: 0AC00960
	v_mul_f32_e32 v97, v97, v5                                 // 000000004FFC: 0AC20B61
	v_mul_f32_e32 v98, v98, v6                                 // 000000005000: 0AC40D62
	v_mul_f32_e32 v99, v99, v7                                 // 000000005004: 0AC60F63
	v_mul_f32_e32 v96, v96, v152                               // 000000005008: 0AC13160
	v_mul_f32_e32 v97, v97, v153                               // 00000000500C: 0AC33361
	v_mul_f32_e32 v98, v98, v154                               // 000000005010: 0AC53562
	v_mul_f32_e32 v99, v99, v155                               // 000000005014: 0AC73763
	v_pk_mul_f32 v[4:5], v[100:101], v[100:101]                // 000000005018: D3B14004 1802C964
	v_pk_mul_f32 v[6:7], v[102:103], v[102:103]                // 000000005020: D3B14006 1802CD66
	v_pk_fma_f32 v[4:5], v[4:5], s[78:79], v[8:9]              // 000000005028: D3B04004 1C209D04
	v_pk_fma_f32 v[6:7], v[6:7], s[78:79], v[8:9]              // 000000005030: D3B04006 1C209D06
	v_pk_mul_f32 v[4:5], v[4:5], v[100:101]                    // 000000005038: D3B14004 1802C904
	v_pk_mul_f32 v[6:7], v[6:7], v[102:103]                    // 000000005040: D3B14006 1802CD06
	v_pk_mul_f32 v[4:5], v[4:5], s[60:61]                      // 000000005048: D3B14004 18007904
	v_pk_mul_f32 v[6:7], v[6:7], s[60:61]                      // 000000005050: D3B14006 18007906
	v_exp_f32_e32 v4, v4                                       // 000000005058: 7E084104
	v_exp_f32_e32 v5, v5                                       // 00000000505C: 7E0A4105
	v_exp_f32_e32 v6, v6                                       // 000000005060: 7E0C4106
	v_exp_f32_e32 v7, v7                                       // 000000005064: 7E0E4107
	v_add_f32_e64 v4, v4, 1.0                                  // 000000005068: D1010004 0001E504
	v_add_f32_e64 v5, v5, 1.0                                  // 000000005070: D1010005 0001E505
	v_add_f32_e64 v6, v6, 1.0                                  // 000000005078: D1010006 0001E506
	v_add_f32_e64 v7, v7, 1.0                                  // 000000005080: D1010007 0001E507
	v_rcp_f32_e32 v4, v4                                       // 000000005088: 7E084504
	v_rcp_f32_e32 v5, v5                                       // 00000000508C: 7E0A4505
	v_rcp_f32_e32 v6, v6                                       // 000000005090: 7E0C4506
	v_rcp_f32_e32 v7, v7                                       // 000000005094: 7E0E4507
	v_mul_f32_e32 v100, v100, v4                               // 000000005098: 0AC80964
	v_mul_f32_e32 v101, v101, v5                               // 00000000509C: 0ACA0B65
	v_mul_f32_e32 v102, v102, v6                               // 0000000050A0: 0ACC0D66
	v_mul_f32_e32 v103, v103, v7                               // 0000000050A4: 0ACE0F67
	v_mul_f32_e32 v100, v100, v156                             // 0000000050A8: 0AC93964
	v_mul_f32_e32 v101, v101, v157                             // 0000000050AC: 0ACB3B65
	v_mul_f32_e32 v102, v102, v158                             // 0000000050B0: 0ACD3D66
	v_mul_f32_e32 v103, v103, v159                             // 0000000050B4: 0ACF3F67
	v_pk_mul_f32 v[4:5], v[104:105], v[104:105]                // 0000000050B8: D3B14004 1802D168
	v_pk_mul_f32 v[6:7], v[106:107], v[106:107]                // 0000000050C0: D3B14006 1802D56A
	v_pk_fma_f32 v[4:5], v[4:5], s[78:79], v[8:9]              // 0000000050C8: D3B04004 1C209D04
	v_pk_fma_f32 v[6:7], v[6:7], s[78:79], v[8:9]              // 0000000050D0: D3B04006 1C209D06
	v_pk_mul_f32 v[4:5], v[4:5], v[104:105]                    // 0000000050D8: D3B14004 1802D104
	v_pk_mul_f32 v[6:7], v[6:7], v[106:107]                    // 0000000050E0: D3B14006 1802D506
	v_pk_mul_f32 v[4:5], v[4:5], s[60:61]                      // 0000000050E8: D3B14004 18007904
	v_pk_mul_f32 v[6:7], v[6:7], s[60:61]                      // 0000000050F0: D3B14006 18007906
	v_exp_f32_e32 v4, v4                                       // 0000000050F8: 7E084104
	v_exp_f32_e32 v5, v5                                       // 0000000050FC: 7E0A4105
	v_exp_f32_e32 v6, v6                                       // 000000005100: 7E0C4106
	v_exp_f32_e32 v7, v7                                       // 000000005104: 7E0E4107
	v_add_f32_e64 v4, v4, 1.0                                  // 000000005108: D1010004 0001E504
	v_add_f32_e64 v5, v5, 1.0                                  // 000000005110: D1010005 0001E505
	v_add_f32_e64 v6, v6, 1.0                                  // 000000005118: D1010006 0001E506
	v_add_f32_e64 v7, v7, 1.0                                  // 000000005120: D1010007 0001E507
	v_rcp_f32_e32 v4, v4                                       // 000000005128: 7E084504
	v_rcp_f32_e32 v5, v5                                       // 00000000512C: 7E0A4505
	v_rcp_f32_e32 v6, v6                                       // 000000005130: 7E0C4506
	v_rcp_f32_e32 v7, v7                                       // 000000005134: 7E0E4507
	v_mul_f32_e32 v104, v104, v4                               // 000000005138: 0AD00968
	v_mul_f32_e32 v105, v105, v5                               // 00000000513C: 0AD20B69
	v_mul_f32_e32 v106, v106, v6                               // 000000005140: 0AD40D6A
	v_mul_f32_e32 v107, v107, v7                               // 000000005144: 0AD60F6B
	v_mul_f32_e32 v104, v104, v160                             // 000000005148: 0AD14168
	v_mul_f32_e32 v105, v105, v161                             // 00000000514C: 0AD34369
	v_mul_f32_e32 v106, v106, v162                             // 000000005150: 0AD5456A
	v_mul_f32_e32 v107, v107, v163                             // 000000005154: 0AD7476B
	v_pk_mul_f32 v[4:5], v[108:109], v[108:109]                // 000000005158: D3B14004 1802D96C
	v_pk_mul_f32 v[6:7], v[110:111], v[110:111]                // 000000005160: D3B14006 1802DD6E
	v_pk_fma_f32 v[4:5], v[4:5], s[78:79], v[8:9]              // 000000005168: D3B04004 1C209D04
	v_pk_fma_f32 v[6:7], v[6:7], s[78:79], v[8:9]              // 000000005170: D3B04006 1C209D06
	v_pk_mul_f32 v[4:5], v[4:5], v[108:109]                    // 000000005178: D3B14004 1802D904
	v_pk_mul_f32 v[6:7], v[6:7], v[110:111]                    // 000000005180: D3B14006 1802DD06
	v_pk_mul_f32 v[4:5], v[4:5], s[60:61]                      // 000000005188: D3B14004 18007904
	v_pk_mul_f32 v[6:7], v[6:7], s[60:61]                      // 000000005190: D3B14006 18007906
	v_exp_f32_e32 v4, v4                                       // 000000005198: 7E084104
	v_exp_f32_e32 v5, v5                                       // 00000000519C: 7E0A4105
	v_exp_f32_e32 v6, v6                                       // 0000000051A0: 7E0C4106
	v_exp_f32_e32 v7, v7                                       // 0000000051A4: 7E0E4107
	v_add_f32_e64 v4, v4, 1.0                                  // 0000000051A8: D1010004 0001E504
	v_add_f32_e64 v5, v5, 1.0                                  // 0000000051B0: D1010005 0001E505
	v_add_f32_e64 v6, v6, 1.0                                  // 0000000051B8: D1010006 0001E506
	v_add_f32_e64 v7, v7, 1.0                                  // 0000000051C0: D1010007 0001E507
	v_rcp_f32_e32 v4, v4                                       // 0000000051C8: 7E084504
	v_rcp_f32_e32 v5, v5                                       // 0000000051CC: 7E0A4505
	v_rcp_f32_e32 v6, v6                                       // 0000000051D0: 7E0C4506
	v_rcp_f32_e32 v7, v7                                       // 0000000051D4: 7E0E4507
	v_mul_f32_e32 v108, v108, v4                               // 0000000051D8: 0AD8096C
	v_mul_f32_e32 v109, v109, v5                               // 0000000051DC: 0ADA0B6D
	v_mul_f32_e32 v110, v110, v6                               // 0000000051E0: 0ADC0D6E
	v_mul_f32_e32 v111, v111, v7                               // 0000000051E4: 0ADE0F6F
	v_mul_f32_e32 v108, v108, v164                             // 0000000051E8: 0AD9496C
	v_mul_f32_e32 v109, v109, v165                             // 0000000051EC: 0ADB4B6D
	v_mul_f32_e32 v110, v110, v166                             // 0000000051F0: 0ADD4D6E
	v_mul_f32_e32 v111, v111, v167                             // 0000000051F4: 0ADF4F6F
	v_pk_mul_f32 v[4:5], v[112:113], v[112:113]                // 0000000051F8: D3B14004 1802E170
	v_pk_mul_f32 v[6:7], v[114:115], v[114:115]                // 000000005200: D3B14006 1802E572
	v_pk_fma_f32 v[4:5], v[4:5], s[78:79], v[8:9]              // 000000005208: D3B04004 1C209D04
	v_pk_fma_f32 v[6:7], v[6:7], s[78:79], v[8:9]              // 000000005210: D3B04006 1C209D06
	v_pk_mul_f32 v[4:5], v[4:5], v[112:113]                    // 000000005218: D3B14004 1802E104
	v_pk_mul_f32 v[6:7], v[6:7], v[114:115]                    // 000000005220: D3B14006 1802E506
	v_pk_mul_f32 v[4:5], v[4:5], s[60:61]                      // 000000005228: D3B14004 18007904
	v_pk_mul_f32 v[6:7], v[6:7], s[60:61]                      // 000000005230: D3B14006 18007906
	v_exp_f32_e32 v4, v4                                       // 000000005238: 7E084104
	v_exp_f32_e32 v5, v5                                       // 00000000523C: 7E0A4105
	v_exp_f32_e32 v6, v6                                       // 000000005240: 7E0C4106
	v_exp_f32_e32 v7, v7                                       // 000000005244: 7E0E4107
	v_add_f32_e64 v4, v4, 1.0                                  // 000000005248: D1010004 0001E504
	v_add_f32_e64 v5, v5, 1.0                                  // 000000005250: D1010005 0001E505
	v_add_f32_e64 v6, v6, 1.0                                  // 000000005258: D1010006 0001E506
	v_add_f32_e64 v7, v7, 1.0                                  // 000000005260: D1010007 0001E507
	v_rcp_f32_e32 v4, v4                                       // 000000005268: 7E084504
	v_rcp_f32_e32 v5, v5                                       // 00000000526C: 7E0A4505
	v_rcp_f32_e32 v6, v6                                       // 000000005270: 7E0C4506
	v_rcp_f32_e32 v7, v7                                       // 000000005274: 7E0E4507
	v_mul_f32_e32 v112, v112, v4                               // 000000005278: 0AE00970
	v_mul_f32_e32 v113, v113, v5                               // 00000000527C: 0AE20B71
	v_mul_f32_e32 v114, v114, v6                               // 000000005280: 0AE40D72
	v_mul_f32_e32 v115, v115, v7                               // 000000005284: 0AE60F73
	v_mul_f32_e32 v112, v112, v168                             // 000000005288: 0AE15170
	v_mul_f32_e32 v113, v113, v169                             // 00000000528C: 0AE35371
	v_mul_f32_e32 v114, v114, v170                             // 000000005290: 0AE55572
	v_mul_f32_e32 v115, v115, v171                             // 000000005294: 0AE75773
	v_pk_mul_f32 v[4:5], v[116:117], v[116:117]                // 000000005298: D3B14004 1802E974
	v_pk_mul_f32 v[6:7], v[118:119], v[118:119]                // 0000000052A0: D3B14006 1802ED76
	v_pk_fma_f32 v[4:5], v[4:5], s[78:79], v[8:9]              // 0000000052A8: D3B04004 1C209D04
	v_pk_fma_f32 v[6:7], v[6:7], s[78:79], v[8:9]              // 0000000052B0: D3B04006 1C209D06
	v_pk_mul_f32 v[4:5], v[4:5], v[116:117]                    // 0000000052B8: D3B14004 1802E904
	v_pk_mul_f32 v[6:7], v[6:7], v[118:119]                    // 0000000052C0: D3B14006 1802ED06
	v_pk_mul_f32 v[4:5], v[4:5], s[60:61]                      // 0000000052C8: D3B14004 18007904
	v_pk_mul_f32 v[6:7], v[6:7], s[60:61]                      // 0000000052D0: D3B14006 18007906
	v_exp_f32_e32 v4, v4                                       // 0000000052D8: 7E084104
	v_exp_f32_e32 v5, v5                                       // 0000000052DC: 7E0A4105
	v_exp_f32_e32 v6, v6                                       // 0000000052E0: 7E0C4106
	v_exp_f32_e32 v7, v7                                       // 0000000052E4: 7E0E4107
	v_add_f32_e64 v4, v4, 1.0                                  // 0000000052E8: D1010004 0001E504
	v_add_f32_e64 v5, v5, 1.0                                  // 0000000052F0: D1010005 0001E505
	v_add_f32_e64 v6, v6, 1.0                                  // 0000000052F8: D1010006 0001E506
	v_add_f32_e64 v7, v7, 1.0                                  // 000000005300: D1010007 0001E507
	v_rcp_f32_e32 v4, v4                                       // 000000005308: 7E084504
	v_rcp_f32_e32 v5, v5                                       // 00000000530C: 7E0A4505
	v_rcp_f32_e32 v6, v6                                       // 000000005310: 7E0C4506
	v_rcp_f32_e32 v7, v7                                       // 000000005314: 7E0E4507
	v_mul_f32_e32 v116, v116, v4                               // 000000005318: 0AE80974
	v_mul_f32_e32 v117, v117, v5                               // 00000000531C: 0AEA0B75
	v_mul_f32_e32 v118, v118, v6                               // 000000005320: 0AEC0D76
	v_mul_f32_e32 v119, v119, v7                               // 000000005324: 0AEE0F77
	v_mul_f32_e32 v116, v116, v172                             // 000000005328: 0AE95974
	v_mul_f32_e32 v117, v117, v173                             // 00000000532C: 0AEB5B75
	v_mul_f32_e32 v118, v118, v174                             // 000000005330: 0AED5D76
	v_mul_f32_e32 v119, v119, v175                             // 000000005334: 0AEF5F77
	v_pk_mul_f32 v[4:5], v[120:121], v[120:121]                // 000000005338: D3B14004 1802F178
	v_pk_mul_f32 v[6:7], v[122:123], v[122:123]                // 000000005340: D3B14006 1802F57A
	v_pk_fma_f32 v[4:5], v[4:5], s[78:79], v[8:9]              // 000000005348: D3B04004 1C209D04
	v_pk_fma_f32 v[6:7], v[6:7], s[78:79], v[8:9]              // 000000005350: D3B04006 1C209D06
	v_pk_mul_f32 v[4:5], v[4:5], v[120:121]                    // 000000005358: D3B14004 1802F104
	v_pk_mul_f32 v[6:7], v[6:7], v[122:123]                    // 000000005360: D3B14006 1802F506
	v_pk_mul_f32 v[4:5], v[4:5], s[60:61]                      // 000000005368: D3B14004 18007904
	v_pk_mul_f32 v[6:7], v[6:7], s[60:61]                      // 000000005370: D3B14006 18007906
	v_exp_f32_e32 v4, v4                                       // 000000005378: 7E084104
	v_exp_f32_e32 v5, v5                                       // 00000000537C: 7E0A4105
	v_exp_f32_e32 v6, v6                                       // 000000005380: 7E0C4106
	v_exp_f32_e32 v7, v7                                       // 000000005384: 7E0E4107
	v_add_f32_e64 v4, v4, 1.0                                  // 000000005388: D1010004 0001E504
	v_add_f32_e64 v5, v5, 1.0                                  // 000000005390: D1010005 0001E505
	v_add_f32_e64 v6, v6, 1.0                                  // 000000005398: D1010006 0001E506
	v_add_f32_e64 v7, v7, 1.0                                  // 0000000053A0: D1010007 0001E507
	v_rcp_f32_e32 v4, v4                                       // 0000000053A8: 7E084504
	v_rcp_f32_e32 v5, v5                                       // 0000000053AC: 7E0A4505
	v_rcp_f32_e32 v6, v6                                       // 0000000053B0: 7E0C4506
	v_rcp_f32_e32 v7, v7                                       // 0000000053B4: 7E0E4507
	v_mul_f32_e32 v120, v120, v4                               // 0000000053B8: 0AF00978
	v_mul_f32_e32 v121, v121, v5                               // 0000000053BC: 0AF20B79
	v_mul_f32_e32 v122, v122, v6                               // 0000000053C0: 0AF40D7A
	v_mul_f32_e32 v123, v123, v7                               // 0000000053C4: 0AF60F7B
	v_mul_f32_e32 v120, v120, v176                             // 0000000053C8: 0AF16178
	v_mul_f32_e32 v121, v121, v177                             // 0000000053CC: 0AF36379
	v_mul_f32_e32 v122, v122, v178                             // 0000000053D0: 0AF5657A
	v_mul_f32_e32 v123, v123, v179                             // 0000000053D4: 0AF7677B
	v_pk_mul_f32 v[4:5], v[124:125], v[124:125]                // 0000000053D8: D3B14004 1802F97C
	v_pk_mul_f32 v[6:7], v[126:127], v[126:127]                // 0000000053E0: D3B14006 1802FD7E
	v_pk_fma_f32 v[4:5], v[4:5], s[78:79], v[8:9]              // 0000000053E8: D3B04004 1C209D04
	v_pk_fma_f32 v[6:7], v[6:7], s[78:79], v[8:9]              // 0000000053F0: D3B04006 1C209D06
	v_pk_mul_f32 v[4:5], v[4:5], v[124:125]                    // 0000000053F8: D3B14004 1802F904
	v_pk_mul_f32 v[6:7], v[6:7], v[126:127]                    // 000000005400: D3B14006 1802FD06
	v_pk_mul_f32 v[4:5], v[4:5], s[60:61]                      // 000000005408: D3B14004 18007904
	v_pk_mul_f32 v[6:7], v[6:7], s[60:61]                      // 000000005410: D3B14006 18007906
	v_exp_f32_e32 v4, v4                                       // 000000005418: 7E084104
	v_exp_f32_e32 v5, v5                                       // 00000000541C: 7E0A4105
	v_exp_f32_e32 v6, v6                                       // 000000005420: 7E0C4106
	v_exp_f32_e32 v7, v7                                       // 000000005424: 7E0E4107
	v_add_f32_e64 v4, v4, 1.0                                  // 000000005428: D1010004 0001E504
	v_add_f32_e64 v5, v5, 1.0                                  // 000000005430: D1010005 0001E505
	v_add_f32_e64 v6, v6, 1.0                                  // 000000005438: D1010006 0001E506
	v_add_f32_e64 v7, v7, 1.0                                  // 000000005440: D1010007 0001E507
	v_rcp_f32_e32 v4, v4                                       // 000000005448: 7E084504
	v_rcp_f32_e32 v5, v5                                       // 00000000544C: 7E0A4505
	v_rcp_f32_e32 v6, v6                                       // 000000005450: 7E0C4506
	v_rcp_f32_e32 v7, v7                                       // 000000005454: 7E0E4507
	v_mul_f32_e32 v124, v124, v4                               // 000000005458: 0AF8097C
	v_mul_f32_e32 v125, v125, v5                               // 00000000545C: 0AFA0B7D
	v_mul_f32_e32 v126, v126, v6                               // 000000005460: 0AFC0D7E
	v_mul_f32_e32 v127, v127, v7                               // 000000005464: 0AFE0F7F
	v_mul_f32_e32 v124, v124, v180                             // 000000005468: 0AF9697C
	v_mul_f32_e32 v125, v125, v181                             // 00000000546C: 0AFB6B7D
	v_mul_f32_e32 v126, v126, v182                             // 000000005470: 0AFD6D7E
	v_mul_f32_e32 v127, v127, v183                             // 000000005474: 0AFF6F7F
	s_branch label_0C5F                                        // 000000005478: BF8201C0

000000000000547c <label_0A9F>:
	v_mul_f32_e64 v4, -v72, s6                                 // 00000000547C: D1050004 20000D48
	v_mul_f32_e64 v5, -v73, s6                                 // 000000005484: D1050005 20000D49
	v_mul_f32_e64 v6, -v74, s6                                 // 00000000548C: D1050006 20000D4A
	v_mul_f32_e64 v7, -v75, s6                                 // 000000005494: D1050007 20000D4B
	v_exp_f32_e32 v4, v4                                       // 00000000549C: 7E084104
	v_exp_f32_e32 v5, v5                                       // 0000000054A0: 7E0A4105
	v_exp_f32_e32 v6, v6                                       // 0000000054A4: 7E0C4106
	v_exp_f32_e32 v7, v7                                       // 0000000054A8: 7E0E4107
	v_add_f32_e64 v4, v4, 1.0                                  // 0000000054AC: D1010004 0001E504
	v_add_f32_e64 v5, v5, 1.0                                  // 0000000054B4: D1010005 0001E505
	v_add_f32_e64 v6, v6, 1.0                                  // 0000000054BC: D1010006 0001E506
	v_add_f32_e64 v7, v7, 1.0                                  // 0000000054C4: D1010007 0001E507
	v_rcp_f32_e32 v4, v4                                       // 0000000054CC: 7E084504
	v_rcp_f32_e32 v5, v5                                       // 0000000054D0: 7E0A4505
	v_rcp_f32_e32 v6, v6                                       // 0000000054D4: 7E0C4506
	v_rcp_f32_e32 v7, v7                                       // 0000000054D8: 7E0E4507
	v_mul_f32_e32 v72, v72, v4                                 // 0000000054DC: 0A900948
	v_mul_f32_e32 v73, v73, v5                                 // 0000000054E0: 0A920B49
	v_mul_f32_e32 v74, v74, v6                                 // 0000000054E4: 0A940D4A
	v_mul_f32_e32 v75, v75, v7                                 // 0000000054E8: 0A960F4B
	v_mul_f32_e32 v72, v72, v128                               // 0000000054EC: 0A910148
	v_mul_f32_e32 v73, v73, v129                               // 0000000054F0: 0A930349
	v_mul_f32_e32 v74, v74, v130                               // 0000000054F4: 0A95054A
	v_mul_f32_e32 v75, v75, v131                               // 0000000054F8: 0A97074B
	v_mul_f32_e64 v4, -v76, s6                                 // 0000000054FC: D1050004 20000D4C
	v_mul_f32_e64 v5, -v77, s6                                 // 000000005504: D1050005 20000D4D
	v_mul_f32_e64 v6, -v78, s6                                 // 00000000550C: D1050006 20000D4E
	v_mul_f32_e64 v7, -v79, s6                                 // 000000005514: D1050007 20000D4F
	v_exp_f32_e32 v4, v4                                       // 00000000551C: 7E084104
	v_exp_f32_e32 v5, v5                                       // 000000005520: 7E0A4105
	v_exp_f32_e32 v6, v6                                       // 000000005524: 7E0C4106
	v_exp_f32_e32 v7, v7                                       // 000000005528: 7E0E4107
	v_add_f32_e64 v4, v4, 1.0                                  // 00000000552C: D1010004 0001E504
	v_add_f32_e64 v5, v5, 1.0                                  // 000000005534: D1010005 0001E505
	v_add_f32_e64 v6, v6, 1.0                                  // 00000000553C: D1010006 0001E506
	v_add_f32_e64 v7, v7, 1.0                                  // 000000005544: D1010007 0001E507
	v_rcp_f32_e32 v4, v4                                       // 00000000554C: 7E084504
	v_rcp_f32_e32 v5, v5                                       // 000000005550: 7E0A4505
	v_rcp_f32_e32 v6, v6                                       // 000000005554: 7E0C4506
	v_rcp_f32_e32 v7, v7                                       // 000000005558: 7E0E4507
	v_mul_f32_e32 v76, v76, v4                                 // 00000000555C: 0A98094C
	v_mul_f32_e32 v77, v77, v5                                 // 000000005560: 0A9A0B4D
	v_mul_f32_e32 v78, v78, v6                                 // 000000005564: 0A9C0D4E
	v_mul_f32_e32 v79, v79, v7                                 // 000000005568: 0A9E0F4F
	v_mul_f32_e32 v76, v76, v132                               // 00000000556C: 0A99094C
	v_mul_f32_e32 v77, v77, v133                               // 000000005570: 0A9B0B4D
	v_mul_f32_e32 v78, v78, v134                               // 000000005574: 0A9D0D4E
	v_mul_f32_e32 v79, v79, v135                               // 000000005578: 0A9F0F4F
	v_mul_f32_e64 v4, -v80, s6                                 // 00000000557C: D1050004 20000D50
	v_mul_f32_e64 v5, -v81, s6                                 // 000000005584: D1050005 20000D51
	v_mul_f32_e64 v6, -v82, s6                                 // 00000000558C: D1050006 20000D52
	v_mul_f32_e64 v7, -v83, s6                                 // 000000005594: D1050007 20000D53
	v_exp_f32_e32 v4, v4                                       // 00000000559C: 7E084104
	v_exp_f32_e32 v5, v5                                       // 0000000055A0: 7E0A4105
	v_exp_f32_e32 v6, v6                                       // 0000000055A4: 7E0C4106
	v_exp_f32_e32 v7, v7                                       // 0000000055A8: 7E0E4107
	v_add_f32_e64 v4, v4, 1.0                                  // 0000000055AC: D1010004 0001E504
	v_add_f32_e64 v5, v5, 1.0                                  // 0000000055B4: D1010005 0001E505
	v_add_f32_e64 v6, v6, 1.0                                  // 0000000055BC: D1010006 0001E506
	v_add_f32_e64 v7, v7, 1.0                                  // 0000000055C4: D1010007 0001E507
	v_rcp_f32_e32 v4, v4                                       // 0000000055CC: 7E084504
	v_rcp_f32_e32 v5, v5                                       // 0000000055D0: 7E0A4505
	v_rcp_f32_e32 v6, v6                                       // 0000000055D4: 7E0C4506
	v_rcp_f32_e32 v7, v7                                       // 0000000055D8: 7E0E4507
	v_mul_f32_e32 v80, v80, v4                                 // 0000000055DC: 0AA00950
	v_mul_f32_e32 v81, v81, v5                                 // 0000000055E0: 0AA20B51
	v_mul_f32_e32 v82, v82, v6                                 // 0000000055E4: 0AA40D52
	v_mul_f32_e32 v83, v83, v7                                 // 0000000055E8: 0AA60F53
	v_mul_f32_e32 v80, v80, v136                               // 0000000055EC: 0AA11150
	v_mul_f32_e32 v81, v81, v137                               // 0000000055F0: 0AA31351
	v_mul_f32_e32 v82, v82, v138                               // 0000000055F4: 0AA51552
	v_mul_f32_e32 v83, v83, v139                               // 0000000055F8: 0AA71753
	v_mul_f32_e64 v4, -v84, s6                                 // 0000000055FC: D1050004 20000D54
	v_mul_f32_e64 v5, -v85, s6                                 // 000000005604: D1050005 20000D55
	v_mul_f32_e64 v6, -v86, s6                                 // 00000000560C: D1050006 20000D56
	v_mul_f32_e64 v7, -v87, s6                                 // 000000005614: D1050007 20000D57
	v_exp_f32_e32 v4, v4                                       // 00000000561C: 7E084104
	v_exp_f32_e32 v5, v5                                       // 000000005620: 7E0A4105
	v_exp_f32_e32 v6, v6                                       // 000000005624: 7E0C4106
	v_exp_f32_e32 v7, v7                                       // 000000005628: 7E0E4107
	v_add_f32_e64 v4, v4, 1.0                                  // 00000000562C: D1010004 0001E504
	v_add_f32_e64 v5, v5, 1.0                                  // 000000005634: D1010005 0001E505
	v_add_f32_e64 v6, v6, 1.0                                  // 00000000563C: D1010006 0001E506
	v_add_f32_e64 v7, v7, 1.0                                  // 000000005644: D1010007 0001E507
	v_rcp_f32_e32 v4, v4                                       // 00000000564C: 7E084504
	v_rcp_f32_e32 v5, v5                                       // 000000005650: 7E0A4505
	v_rcp_f32_e32 v6, v6                                       // 000000005654: 7E0C4506
	v_rcp_f32_e32 v7, v7                                       // 000000005658: 7E0E4507
	v_mul_f32_e32 v84, v84, v4                                 // 00000000565C: 0AA80954
	v_mul_f32_e32 v85, v85, v5                                 // 000000005660: 0AAA0B55
	v_mul_f32_e32 v86, v86, v6                                 // 000000005664: 0AAC0D56
	v_mul_f32_e32 v87, v87, v7                                 // 000000005668: 0AAE0F57
	v_mul_f32_e32 v84, v84, v140                               // 00000000566C: 0AA91954
	v_mul_f32_e32 v85, v85, v141                               // 000000005670: 0AAB1B55
	v_mul_f32_e32 v86, v86, v142                               // 000000005674: 0AAD1D56
	v_mul_f32_e32 v87, v87, v143                               // 000000005678: 0AAF1F57
	v_mul_f32_e64 v4, -v88, s6                                 // 00000000567C: D1050004 20000D58
	v_mul_f32_e64 v5, -v89, s6                                 // 000000005684: D1050005 20000D59
	v_mul_f32_e64 v6, -v90, s6                                 // 00000000568C: D1050006 20000D5A
	v_mul_f32_e64 v7, -v91, s6                                 // 000000005694: D1050007 20000D5B
	v_exp_f32_e32 v4, v4                                       // 00000000569C: 7E084104
	v_exp_f32_e32 v5, v5                                       // 0000000056A0: 7E0A4105
	v_exp_f32_e32 v6, v6                                       // 0000000056A4: 7E0C4106
	v_exp_f32_e32 v7, v7                                       // 0000000056A8: 7E0E4107
	v_add_f32_e64 v4, v4, 1.0                                  // 0000000056AC: D1010004 0001E504
	v_add_f32_e64 v5, v5, 1.0                                  // 0000000056B4: D1010005 0001E505
	v_add_f32_e64 v6, v6, 1.0                                  // 0000000056BC: D1010006 0001E506
	v_add_f32_e64 v7, v7, 1.0                                  // 0000000056C4: D1010007 0001E507
	v_rcp_f32_e32 v4, v4                                       // 0000000056CC: 7E084504
	v_rcp_f32_e32 v5, v5                                       // 0000000056D0: 7E0A4505
	v_rcp_f32_e32 v6, v6                                       // 0000000056D4: 7E0C4506
	v_rcp_f32_e32 v7, v7                                       // 0000000056D8: 7E0E4507
	v_mul_f32_e32 v88, v88, v4                                 // 0000000056DC: 0AB00958
	v_mul_f32_e32 v89, v89, v5                                 // 0000000056E0: 0AB20B59
	v_mul_f32_e32 v90, v90, v6                                 // 0000000056E4: 0AB40D5A
	v_mul_f32_e32 v91, v91, v7                                 // 0000000056E8: 0AB60F5B
	v_mul_f32_e32 v88, v88, v144                               // 0000000056EC: 0AB12158
	v_mul_f32_e32 v89, v89, v145                               // 0000000056F0: 0AB32359
	v_mul_f32_e32 v90, v90, v146                               // 0000000056F4: 0AB5255A
	v_mul_f32_e32 v91, v91, v147                               // 0000000056F8: 0AB7275B
	v_mul_f32_e64 v4, -v92, s6                                 // 0000000056FC: D1050004 20000D5C
	v_mul_f32_e64 v5, -v93, s6                                 // 000000005704: D1050005 20000D5D
	v_mul_f32_e64 v6, -v94, s6                                 // 00000000570C: D1050006 20000D5E
	v_mul_f32_e64 v7, -v95, s6                                 // 000000005714: D1050007 20000D5F
	v_exp_f32_e32 v4, v4                                       // 00000000571C: 7E084104
	v_exp_f32_e32 v5, v5                                       // 000000005720: 7E0A4105
	v_exp_f32_e32 v6, v6                                       // 000000005724: 7E0C4106
	v_exp_f32_e32 v7, v7                                       // 000000005728: 7E0E4107
	v_add_f32_e64 v4, v4, 1.0                                  // 00000000572C: D1010004 0001E504
	v_add_f32_e64 v5, v5, 1.0                                  // 000000005734: D1010005 0001E505
	v_add_f32_e64 v6, v6, 1.0                                  // 00000000573C: D1010006 0001E506
	v_add_f32_e64 v7, v7, 1.0                                  // 000000005744: D1010007 0001E507
	v_rcp_f32_e32 v4, v4                                       // 00000000574C: 7E084504
	v_rcp_f32_e32 v5, v5                                       // 000000005750: 7E0A4505
	v_rcp_f32_e32 v6, v6                                       // 000000005754: 7E0C4506
	v_rcp_f32_e32 v7, v7                                       // 000000005758: 7E0E4507
	v_mul_f32_e32 v92, v92, v4                                 // 00000000575C: 0AB8095C
	v_mul_f32_e32 v93, v93, v5                                 // 000000005760: 0ABA0B5D
	v_mul_f32_e32 v94, v94, v6                                 // 000000005764: 0ABC0D5E
	v_mul_f32_e32 v95, v95, v7                                 // 000000005768: 0ABE0F5F
	v_mul_f32_e32 v92, v92, v148                               // 00000000576C: 0AB9295C
	v_mul_f32_e32 v93, v93, v149                               // 000000005770: 0ABB2B5D
	v_mul_f32_e32 v94, v94, v150                               // 000000005774: 0ABD2D5E
	v_mul_f32_e32 v95, v95, v151                               // 000000005778: 0ABF2F5F
	v_mul_f32_e64 v4, -v96, s6                                 // 00000000577C: D1050004 20000D60
	v_mul_f32_e64 v5, -v97, s6                                 // 000000005784: D1050005 20000D61
	v_mul_f32_e64 v6, -v98, s6                                 // 00000000578C: D1050006 20000D62
	v_mul_f32_e64 v7, -v99, s6                                 // 000000005794: D1050007 20000D63
	v_exp_f32_e32 v4, v4                                       // 00000000579C: 7E084104
	v_exp_f32_e32 v5, v5                                       // 0000000057A0: 7E0A4105
	v_exp_f32_e32 v6, v6                                       // 0000000057A4: 7E0C4106
	v_exp_f32_e32 v7, v7                                       // 0000000057A8: 7E0E4107
	v_add_f32_e64 v4, v4, 1.0                                  // 0000000057AC: D1010004 0001E504
	v_add_f32_e64 v5, v5, 1.0                                  // 0000000057B4: D1010005 0001E505
	v_add_f32_e64 v6, v6, 1.0                                  // 0000000057BC: D1010006 0001E506
	v_add_f32_e64 v7, v7, 1.0                                  // 0000000057C4: D1010007 0001E507
	v_rcp_f32_e32 v4, v4                                       // 0000000057CC: 7E084504
	v_rcp_f32_e32 v5, v5                                       // 0000000057D0: 7E0A4505
	v_rcp_f32_e32 v6, v6                                       // 0000000057D4: 7E0C4506
	v_rcp_f32_e32 v7, v7                                       // 0000000057D8: 7E0E4507
	v_mul_f32_e32 v96, v96, v4                                 // 0000000057DC: 0AC00960
	v_mul_f32_e32 v97, v97, v5                                 // 0000000057E0: 0AC20B61
	v_mul_f32_e32 v98, v98, v6                                 // 0000000057E4: 0AC40D62
	v_mul_f32_e32 v99, v99, v7                                 // 0000000057E8: 0AC60F63
	v_mul_f32_e32 v96, v96, v152                               // 0000000057EC: 0AC13160
	v_mul_f32_e32 v97, v97, v153                               // 0000000057F0: 0AC33361
	v_mul_f32_e32 v98, v98, v154                               // 0000000057F4: 0AC53562
	v_mul_f32_e32 v99, v99, v155                               // 0000000057F8: 0AC73763
	v_mul_f32_e64 v4, -v100, s6                                // 0000000057FC: D1050004 20000D64
	v_mul_f32_e64 v5, -v101, s6                                // 000000005804: D1050005 20000D65
	v_mul_f32_e64 v6, -v102, s6                                // 00000000580C: D1050006 20000D66
	v_mul_f32_e64 v7, -v103, s6                                // 000000005814: D1050007 20000D67
	v_exp_f32_e32 v4, v4                                       // 00000000581C: 7E084104
	v_exp_f32_e32 v5, v5                                       // 000000005820: 7E0A4105
	v_exp_f32_e32 v6, v6                                       // 000000005824: 7E0C4106
	v_exp_f32_e32 v7, v7                                       // 000000005828: 7E0E4107
	v_add_f32_e64 v4, v4, 1.0                                  // 00000000582C: D1010004 0001E504
	v_add_f32_e64 v5, v5, 1.0                                  // 000000005834: D1010005 0001E505
	v_add_f32_e64 v6, v6, 1.0                                  // 00000000583C: D1010006 0001E506
	v_add_f32_e64 v7, v7, 1.0                                  // 000000005844: D1010007 0001E507
	v_rcp_f32_e32 v4, v4                                       // 00000000584C: 7E084504
	v_rcp_f32_e32 v5, v5                                       // 000000005850: 7E0A4505
	v_rcp_f32_e32 v6, v6                                       // 000000005854: 7E0C4506
	v_rcp_f32_e32 v7, v7                                       // 000000005858: 7E0E4507
	v_mul_f32_e32 v100, v100, v4                               // 00000000585C: 0AC80964
	v_mul_f32_e32 v101, v101, v5                               // 000000005860: 0ACA0B65
	v_mul_f32_e32 v102, v102, v6                               // 000000005864: 0ACC0D66
	v_mul_f32_e32 v103, v103, v7                               // 000000005868: 0ACE0F67
	v_mul_f32_e32 v100, v100, v156                             // 00000000586C: 0AC93964
	v_mul_f32_e32 v101, v101, v157                             // 000000005870: 0ACB3B65
	v_mul_f32_e32 v102, v102, v158                             // 000000005874: 0ACD3D66
	v_mul_f32_e32 v103, v103, v159                             // 000000005878: 0ACF3F67
	v_mul_f32_e64 v4, -v104, s6                                // 00000000587C: D1050004 20000D68
	v_mul_f32_e64 v5, -v105, s6                                // 000000005884: D1050005 20000D69
	v_mul_f32_e64 v6, -v106, s6                                // 00000000588C: D1050006 20000D6A
	v_mul_f32_e64 v7, -v107, s6                                // 000000005894: D1050007 20000D6B
	v_exp_f32_e32 v4, v4                                       // 00000000589C: 7E084104
	v_exp_f32_e32 v5, v5                                       // 0000000058A0: 7E0A4105
	v_exp_f32_e32 v6, v6                                       // 0000000058A4: 7E0C4106
	v_exp_f32_e32 v7, v7                                       // 0000000058A8: 7E0E4107
	v_add_f32_e64 v4, v4, 1.0                                  // 0000000058AC: D1010004 0001E504
	v_add_f32_e64 v5, v5, 1.0                                  // 0000000058B4: D1010005 0001E505
	v_add_f32_e64 v6, v6, 1.0                                  // 0000000058BC: D1010006 0001E506
	v_add_f32_e64 v7, v7, 1.0                                  // 0000000058C4: D1010007 0001E507
	v_rcp_f32_e32 v4, v4                                       // 0000000058CC: 7E084504
	v_rcp_f32_e32 v5, v5                                       // 0000000058D0: 7E0A4505
	v_rcp_f32_e32 v6, v6                                       // 0000000058D4: 7E0C4506
	v_rcp_f32_e32 v7, v7                                       // 0000000058D8: 7E0E4507
	v_mul_f32_e32 v104, v104, v4                               // 0000000058DC: 0AD00968
	v_mul_f32_e32 v105, v105, v5                               // 0000000058E0: 0AD20B69
	v_mul_f32_e32 v106, v106, v6                               // 0000000058E4: 0AD40D6A
	v_mul_f32_e32 v107, v107, v7                               // 0000000058E8: 0AD60F6B
	v_mul_f32_e32 v104, v104, v160                             // 0000000058EC: 0AD14168
	v_mul_f32_e32 v105, v105, v161                             // 0000000058F0: 0AD34369
	v_mul_f32_e32 v106, v106, v162                             // 0000000058F4: 0AD5456A
	v_mul_f32_e32 v107, v107, v163                             // 0000000058F8: 0AD7476B
	v_mul_f32_e64 v4, -v108, s6                                // 0000000058FC: D1050004 20000D6C
	v_mul_f32_e64 v5, -v109, s6                                // 000000005904: D1050005 20000D6D
	v_mul_f32_e64 v6, -v110, s6                                // 00000000590C: D1050006 20000D6E
	v_mul_f32_e64 v7, -v111, s6                                // 000000005914: D1050007 20000D6F
	v_exp_f32_e32 v4, v4                                       // 00000000591C: 7E084104
	v_exp_f32_e32 v5, v5                                       // 000000005920: 7E0A4105
	v_exp_f32_e32 v6, v6                                       // 000000005924: 7E0C4106
	v_exp_f32_e32 v7, v7                                       // 000000005928: 7E0E4107
	v_add_f32_e64 v4, v4, 1.0                                  // 00000000592C: D1010004 0001E504
	v_add_f32_e64 v5, v5, 1.0                                  // 000000005934: D1010005 0001E505
	v_add_f32_e64 v6, v6, 1.0                                  // 00000000593C: D1010006 0001E506
	v_add_f32_e64 v7, v7, 1.0                                  // 000000005944: D1010007 0001E507
	v_rcp_f32_e32 v4, v4                                       // 00000000594C: 7E084504
	v_rcp_f32_e32 v5, v5                                       // 000000005950: 7E0A4505
	v_rcp_f32_e32 v6, v6                                       // 000000005954: 7E0C4506
	v_rcp_f32_e32 v7, v7                                       // 000000005958: 7E0E4507
	v_mul_f32_e32 v108, v108, v4                               // 00000000595C: 0AD8096C
	v_mul_f32_e32 v109, v109, v5                               // 000000005960: 0ADA0B6D
	v_mul_f32_e32 v110, v110, v6                               // 000000005964: 0ADC0D6E
	v_mul_f32_e32 v111, v111, v7                               // 000000005968: 0ADE0F6F
	v_mul_f32_e32 v108, v108, v164                             // 00000000596C: 0AD9496C
	v_mul_f32_e32 v109, v109, v165                             // 000000005970: 0ADB4B6D
	v_mul_f32_e32 v110, v110, v166                             // 000000005974: 0ADD4D6E
	v_mul_f32_e32 v111, v111, v167                             // 000000005978: 0ADF4F6F
	v_mul_f32_e64 v4, -v112, s6                                // 00000000597C: D1050004 20000D70
	v_mul_f32_e64 v5, -v113, s6                                // 000000005984: D1050005 20000D71
	v_mul_f32_e64 v6, -v114, s6                                // 00000000598C: D1050006 20000D72
	v_mul_f32_e64 v7, -v115, s6                                // 000000005994: D1050007 20000D73
	v_exp_f32_e32 v4, v4                                       // 00000000599C: 7E084104
	v_exp_f32_e32 v5, v5                                       // 0000000059A0: 7E0A4105
	v_exp_f32_e32 v6, v6                                       // 0000000059A4: 7E0C4106
	v_exp_f32_e32 v7, v7                                       // 0000000059A8: 7E0E4107
	v_add_f32_e64 v4, v4, 1.0                                  // 0000000059AC: D1010004 0001E504
	v_add_f32_e64 v5, v5, 1.0                                  // 0000000059B4: D1010005 0001E505
	v_add_f32_e64 v6, v6, 1.0                                  // 0000000059BC: D1010006 0001E506
	v_add_f32_e64 v7, v7, 1.0                                  // 0000000059C4: D1010007 0001E507
	v_rcp_f32_e32 v4, v4                                       // 0000000059CC: 7E084504
	v_rcp_f32_e32 v5, v5                                       // 0000000059D0: 7E0A4505
	v_rcp_f32_e32 v6, v6                                       // 0000000059D4: 7E0C4506
	v_rcp_f32_e32 v7, v7                                       // 0000000059D8: 7E0E4507
	v_mul_f32_e32 v112, v112, v4                               // 0000000059DC: 0AE00970
	v_mul_f32_e32 v113, v113, v5                               // 0000000059E0: 0AE20B71
	v_mul_f32_e32 v114, v114, v6                               // 0000000059E4: 0AE40D72
	v_mul_f32_e32 v115, v115, v7                               // 0000000059E8: 0AE60F73
	v_mul_f32_e32 v112, v112, v168                             // 0000000059EC: 0AE15170
	v_mul_f32_e32 v113, v113, v169                             // 0000000059F0: 0AE35371
	v_mul_f32_e32 v114, v114, v170                             // 0000000059F4: 0AE55572
	v_mul_f32_e32 v115, v115, v171                             // 0000000059F8: 0AE75773
	v_mul_f32_e64 v4, -v116, s6                                // 0000000059FC: D1050004 20000D74
	v_mul_f32_e64 v5, -v117, s6                                // 000000005A04: D1050005 20000D75
	v_mul_f32_e64 v6, -v118, s6                                // 000000005A0C: D1050006 20000D76
	v_mul_f32_e64 v7, -v119, s6                                // 000000005A14: D1050007 20000D77
	v_exp_f32_e32 v4, v4                                       // 000000005A1C: 7E084104
	v_exp_f32_e32 v5, v5                                       // 000000005A20: 7E0A4105
	v_exp_f32_e32 v6, v6                                       // 000000005A24: 7E0C4106
	v_exp_f32_e32 v7, v7                                       // 000000005A28: 7E0E4107
	v_add_f32_e64 v4, v4, 1.0                                  // 000000005A2C: D1010004 0001E504
	v_add_f32_e64 v5, v5, 1.0                                  // 000000005A34: D1010005 0001E505
	v_add_f32_e64 v6, v6, 1.0                                  // 000000005A3C: D1010006 0001E506
	v_add_f32_e64 v7, v7, 1.0                                  // 000000005A44: D1010007 0001E507
	v_rcp_f32_e32 v4, v4                                       // 000000005A4C: 7E084504
	v_rcp_f32_e32 v5, v5                                       // 000000005A50: 7E0A4505
	v_rcp_f32_e32 v6, v6                                       // 000000005A54: 7E0C4506
	v_rcp_f32_e32 v7, v7                                       // 000000005A58: 7E0E4507
	v_mul_f32_e32 v116, v116, v4                               // 000000005A5C: 0AE80974
	v_mul_f32_e32 v117, v117, v5                               // 000000005A60: 0AEA0B75
	v_mul_f32_e32 v118, v118, v6                               // 000000005A64: 0AEC0D76
	v_mul_f32_e32 v119, v119, v7                               // 000000005A68: 0AEE0F77
	v_mul_f32_e32 v116, v116, v172                             // 000000005A6C: 0AE95974
	v_mul_f32_e32 v117, v117, v173                             // 000000005A70: 0AEB5B75
	v_mul_f32_e32 v118, v118, v174                             // 000000005A74: 0AED5D76
	v_mul_f32_e32 v119, v119, v175                             // 000000005A78: 0AEF5F77
	v_mul_f32_e64 v4, -v120, s6                                // 000000005A7C: D1050004 20000D78
	v_mul_f32_e64 v5, -v121, s6                                // 000000005A84: D1050005 20000D79
	v_mul_f32_e64 v6, -v122, s6                                // 000000005A8C: D1050006 20000D7A
	v_mul_f32_e64 v7, -v123, s6                                // 000000005A94: D1050007 20000D7B
	v_exp_f32_e32 v4, v4                                       // 000000005A9C: 7E084104
	v_exp_f32_e32 v5, v5                                       // 000000005AA0: 7E0A4105
	v_exp_f32_e32 v6, v6                                       // 000000005AA4: 7E0C4106
	v_exp_f32_e32 v7, v7                                       // 000000005AA8: 7E0E4107
	v_add_f32_e64 v4, v4, 1.0                                  // 000000005AAC: D1010004 0001E504
	v_add_f32_e64 v5, v5, 1.0                                  // 000000005AB4: D1010005 0001E505
	v_add_f32_e64 v6, v6, 1.0                                  // 000000005ABC: D1010006 0001E506
	v_add_f32_e64 v7, v7, 1.0                                  // 000000005AC4: D1010007 0001E507
	v_rcp_f32_e32 v4, v4                                       // 000000005ACC: 7E084504
	v_rcp_f32_e32 v5, v5                                       // 000000005AD0: 7E0A4505
	v_rcp_f32_e32 v6, v6                                       // 000000005AD4: 7E0C4506
	v_rcp_f32_e32 v7, v7                                       // 000000005AD8: 7E0E4507
	v_mul_f32_e32 v120, v120, v4                               // 000000005ADC: 0AF00978
	v_mul_f32_e32 v121, v121, v5                               // 000000005AE0: 0AF20B79
	v_mul_f32_e32 v122, v122, v6                               // 000000005AE4: 0AF40D7A
	v_mul_f32_e32 v123, v123, v7                               // 000000005AE8: 0AF60F7B
	v_mul_f32_e32 v120, v120, v176                             // 000000005AEC: 0AF16178
	v_mul_f32_e32 v121, v121, v177                             // 000000005AF0: 0AF36379
	v_mul_f32_e32 v122, v122, v178                             // 000000005AF4: 0AF5657A
	v_mul_f32_e32 v123, v123, v179                             // 000000005AF8: 0AF7677B
	v_mul_f32_e64 v4, -v124, s6                                // 000000005AFC: D1050004 20000D7C
	v_mul_f32_e64 v5, -v125, s6                                // 000000005B04: D1050005 20000D7D
	v_mul_f32_e64 v6, -v126, s6                                // 000000005B0C: D1050006 20000D7E
	v_mul_f32_e64 v7, -v127, s6                                // 000000005B14: D1050007 20000D7F
	v_exp_f32_e32 v4, v4                                       // 000000005B1C: 7E084104
	v_exp_f32_e32 v5, v5                                       // 000000005B20: 7E0A4105
	v_exp_f32_e32 v6, v6                                       // 000000005B24: 7E0C4106
	v_exp_f32_e32 v7, v7                                       // 000000005B28: 7E0E4107
	v_add_f32_e64 v4, v4, 1.0                                  // 000000005B2C: D1010004 0001E504
	v_add_f32_e64 v5, v5, 1.0                                  // 000000005B34: D1010005 0001E505
	v_add_f32_e64 v6, v6, 1.0                                  // 000000005B3C: D1010006 0001E506
	v_add_f32_e64 v7, v7, 1.0                                  // 000000005B44: D1010007 0001E507
	v_rcp_f32_e32 v4, v4                                       // 000000005B4C: 7E084504
	v_rcp_f32_e32 v5, v5                                       // 000000005B50: 7E0A4505
	v_rcp_f32_e32 v6, v6                                       // 000000005B54: 7E0C4506
	v_rcp_f32_e32 v7, v7                                       // 000000005B58: 7E0E4507
	v_mul_f32_e32 v124, v124, v4                               // 000000005B5C: 0AF8097C
	v_mul_f32_e32 v125, v125, v5                               // 000000005B60: 0AFA0B7D
	v_mul_f32_e32 v126, v126, v6                               // 000000005B64: 0AFC0D7E
	v_mul_f32_e32 v127, v127, v7                               // 000000005B68: 0AFE0F7F
	v_mul_f32_e32 v124, v124, v180                             // 000000005B6C: 0AF9697C
	v_mul_f32_e32 v125, v125, v181                             // 000000005B70: 0AFB6B7D
	v_mul_f32_e32 v126, v126, v182                             // 000000005B74: 0AFD6D7E
	v_mul_f32_e32 v127, v127, v183                             // 000000005B78: 0AFF6F7F

0000000000005b7c <label_0C5F>:
	s_cmp_eq_u32 s7, 0                                         // 000000005B7C: BF068007
	s_cbranch_scc0 label_0C78                                  // 000000005B80: BF840017
	v_and_b32_e32 v4, 15, v0                                   // 000000005B84: 2608008F
	v_lshlrev_b32_e32 v4, 2, v4                                // 000000005B88: 24080882
	buffer_load_dword v28, v4, s[12:15], 0 offen               // 000000005B8C: E0501000 80031C04
	v_add_u32_e32 v4, 64, v4                                   // 000000005B94: 680808C0
	buffer_load_dword v29, v4, s[12:15], 0 offen               // 000000005B98: E0501000 80031D04
	v_add_u32_e32 v4, 64, v4                                   // 000000005BA0: 680808C0
	buffer_load_dword v30, v4, s[12:15], 0 offen               // 000000005BA4: E0501000 80031E04
	v_add_u32_e32 v4, 64, v4                                   // 000000005BAC: 680808C0
	buffer_load_dword v31, v4, s[12:15], 0 offen               // 000000005BB0: E0501000 80031F04
	v_add_u32_e32 v4, 64, v4                                   // 000000005BB8: 680808C0
	buffer_load_dword v32, v4, s[12:15], 0 offen               // 000000005BBC: E0501000 80032004
	v_add_u32_e32 v4, 64, v4                                   // 000000005BC4: 680808C0
	buffer_load_dword v33, v4, s[12:15], 0 offen               // 000000005BC8: E0501000 80032104
	v_add_u32_e32 v4, 64, v4                                   // 000000005BD0: 680808C0
	buffer_load_dword v34, v4, s[12:15], 0 offen               // 000000005BD4: E0501000 80032204
	v_add_u32_e32 v4, 64, v4                                   // 000000005BDC: 680808C0

0000000000005be0 <label_0C78>:
	v_lshlrev_b32_e32 v4, 2, v0                                // 000000005BE0: 24080082
	s_mul_i32 s60, 0x100, s7                                   // 000000005BE4: 923C07FF 00000100
	v_add_u32_e32 v135, s60, v4                                // 000000005BEC: 690E083C
	v_and_b32_e32 v4, 15, v0                                   // 000000005BF0: 2608008F
	v_lshlrev_b32_e32 v136, 2, v4                              // 000000005BF4: 25100882
	s_waitcnt lgkmcnt(0)                                       // 000000005BF8: BF8CC07F
	s_barrier                                                  // 000000005BFC: BF8A0000
	v_mov_b32_e32 v128, 0x358637bd                             // 000000005C00: 7F0002FF 358637BD
	v_max3_f32 v128, |v72|, |v73|, v128                        // 000000005C08: D1D30380 06029348
	v_max3_f32 v128, |v74|, |v75|, v128                        // 000000005C10: D1D30380 0602974A
	v_max3_f32 v128, |v100|, |v101|, v128                      // 000000005C18: D1D30380 0602CB64
	v_max3_f32 v128, |v102|, |v103|, v128                      // 000000005C20: D1D30380 0602CF66
	ds_write_b32 v135, v128                                    // 000000005C28: D81A0000 00008087
	s_waitcnt lgkmcnt(0)                                       // 000000005C30: BF8CC07F
	s_barrier                                                  // 000000005C34: BF8A0000
	ds_read_b32 v4, v136                                       // 000000005C38: D86C0000 04000088
	ds_read_b32 v5, v136 offset:64                             // 000000005C40: D86C0040 05000088
	ds_read_b32 v6, v136 offset:128                            // 000000005C48: D86C0080 06000088
	ds_read_b32 v7, v136 offset:192                            // 000000005C50: D86C00C0 07000088
	ds_read_b32 v8, v136 offset:256                            // 000000005C58: D86C0100 08000088
	ds_read_b32 v9, v136 offset:320                            // 000000005C60: D86C0140 09000088
	ds_read_b32 v10, v136 offset:384                           // 000000005C68: D86C0180 0A000088
	ds_read_b32 v11, v136 offset:448                           // 000000005C70: D86C01C0 0B000088
	ds_read_b32 v12, v136 offset:512                           // 000000005C78: D86C0200 0C000088
	ds_read_b32 v13, v136 offset:576                           // 000000005C80: D86C0240 0D000088
	ds_read_b32 v14, v136 offset:640                           // 000000005C88: D86C0280 0E000088
	ds_read_b32 v15, v136 offset:704                           // 000000005C90: D86C02C0 0F000088
	ds_read_b32 v16, v136 offset:768                           // 000000005C98: D86C0300 10000088
	ds_read_b32 v17, v136 offset:832                           // 000000005CA0: D86C0340 11000088
	ds_read_b32 v18, v136 offset:896                           // 000000005CA8: D86C0380 12000088
	ds_read_b32 v19, v136 offset:960                           // 000000005CB0: D86C03C0 13000088
	s_waitcnt lgkmcnt(0)                                       // 000000005CB8: BF8CC07F
	s_barrier                                                  // 000000005CBC: BF8A0000
	v_max3_f32 v128, |v4|, |v5|, v128                          // 000000005CC0: D1D30380 06020B04
	v_max3_f32 v128, |v6|, |v7|, v128                          // 000000005CC8: D1D30380 06020F06
	v_max3_f32 v128, |v8|, |v9|, v128                          // 000000005CD0: D1D30380 06021308
	v_max3_f32 v128, |v10|, |v11|, v128                        // 000000005CD8: D1D30380 0602170A
	v_max3_f32 v128, |v12|, |v13|, v128                        // 000000005CE0: D1D30380 06021B0C
	v_max3_f32 v128, |v14|, |v15|, v128                        // 000000005CE8: D1D30380 06021F0E
	v_max3_f32 v128, |v16|, |v17|, v128                        // 000000005CF0: D1D30380 06022310
	v_max3_f32 v128, |v18|, |v19|, v128                        // 000000005CF8: D1D30380 06022712
	v_rcp_f32_e32 v128, v128                                   // 000000005D00: 7F004580
	v_mov_b32_e32 v4, 0x43700000                               // 000000005D04: 7E0802FF 43700000
	v_mul_f32_e32 v128, v4, v128                               // 000000005D0C: 0B010104
	v_mov_b32_e32 v4, v128                                     // 000000005D10: 7E080380
	v_mov_b32_e32 v5, v4                                       // 000000005D14: 7E0A0304
	v_pk_mul_f32 v[72:73], v[4:5], v[72:73]                    // 000000005D18: D3B14048 18029104
	v_pk_mul_f32 v[74:75], v[4:5], v[74:75]                    // 000000005D20: D3B1404A 18029504
	v_cvt_pk_fp8_f32 v72, v72, v73                             // 000000005D28: D2A20048 00029348
	v_cvt_pk_fp8_f32 v72, v74, v75 op_sel:[0,0,1]              // 000000005D30: D2A24048 0002974A
	v_pk_mul_f32 v[100:101], v[4:5], v[100:101]                // 000000005D38: D3B14064 1802C904
	v_pk_mul_f32 v[102:103], v[4:5], v[102:103]                // 000000005D40: D3B14066 1802CD04
	v_cvt_pk_fp8_f32 v100, v100, v101                          // 000000005D48: D2A20064 0002CB64
	v_cvt_pk_fp8_f32 v100, v102, v103 op_sel:[0,0,1]           // 000000005D50: D2A24064 0002CF66
	v_rcp_f32_e32 v128, v128                                   // 000000005D58: 7F004580
	v_mov_b32_e32 v129, 0x358637bd                             // 000000005D5C: 7F0202FF 358637BD
	v_max3_f32 v129, |v76|, |v77|, v129                        // 000000005D64: D1D30381 06069B4C
	v_max3_f32 v129, |v78|, |v79|, v129                        // 000000005D6C: D1D30381 06069F4E
	v_max3_f32 v129, |v104|, |v105|, v129                      // 000000005D74: D1D30381 0606D368
	v_max3_f32 v129, |v106|, |v107|, v129                      // 000000005D7C: D1D30381 0606D76A
	ds_write_b32 v135, v129                                    // 000000005D84: D81A0000 00008187
	s_waitcnt lgkmcnt(0)                                       // 000000005D8C: BF8CC07F
	s_barrier                                                  // 000000005D90: BF8A0000
	ds_read_b32 v4, v136                                       // 000000005D94: D86C0000 04000088
	ds_read_b32 v5, v136 offset:64                             // 000000005D9C: D86C0040 05000088
	ds_read_b32 v6, v136 offset:128                            // 000000005DA4: D86C0080 06000088
	ds_read_b32 v7, v136 offset:192                            // 000000005DAC: D86C00C0 07000088
	ds_read_b32 v8, v136 offset:256                            // 000000005DB4: D86C0100 08000088
	ds_read_b32 v9, v136 offset:320                            // 000000005DBC: D86C0140 09000088
	ds_read_b32 v10, v136 offset:384                           // 000000005DC4: D86C0180 0A000088
	ds_read_b32 v11, v136 offset:448                           // 000000005DCC: D86C01C0 0B000088
	ds_read_b32 v12, v136 offset:512                           // 000000005DD4: D86C0200 0C000088
	ds_read_b32 v13, v136 offset:576                           // 000000005DDC: D86C0240 0D000088
	ds_read_b32 v14, v136 offset:640                           // 000000005DE4: D86C0280 0E000088
	ds_read_b32 v15, v136 offset:704                           // 000000005DEC: D86C02C0 0F000088
	ds_read_b32 v16, v136 offset:768                           // 000000005DF4: D86C0300 10000088
	ds_read_b32 v17, v136 offset:832                           // 000000005DFC: D86C0340 11000088
	ds_read_b32 v18, v136 offset:896                           // 000000005E04: D86C0380 12000088
	ds_read_b32 v19, v136 offset:960                           // 000000005E0C: D86C03C0 13000088
	s_waitcnt lgkmcnt(0)                                       // 000000005E14: BF8CC07F
	s_barrier                                                  // 000000005E18: BF8A0000
	v_max3_f32 v129, |v4|, |v5|, v129                          // 000000005E1C: D1D30381 06060B04
	v_max3_f32 v129, |v6|, |v7|, v129                          // 000000005E24: D1D30381 06060F06
	v_max3_f32 v129, |v8|, |v9|, v129                          // 000000005E2C: D1D30381 06061308
	v_max3_f32 v129, |v10|, |v11|, v129                        // 000000005E34: D1D30381 0606170A
	v_max3_f32 v129, |v12|, |v13|, v129                        // 000000005E3C: D1D30381 06061B0C
	v_max3_f32 v129, |v14|, |v15|, v129                        // 000000005E44: D1D30381 06061F0E
	v_max3_f32 v129, |v16|, |v17|, v129                        // 000000005E4C: D1D30381 06062310
	v_max3_f32 v129, |v18|, |v19|, v129                        // 000000005E54: D1D30381 06062712
	v_rcp_f32_e32 v129, v129                                   // 000000005E5C: 7F024581
	v_mov_b32_e32 v4, 0x43700000                               // 000000005E60: 7E0802FF 43700000
	v_mul_f32_e32 v129, v4, v129                               // 000000005E68: 0B030304
	v_mov_b32_e32 v4, v129                                     // 000000005E6C: 7E080381
	v_mov_b32_e32 v5, v4                                       // 000000005E70: 7E0A0304
	v_pk_mul_f32 v[76:77], v[4:5], v[76:77]                    // 000000005E74: D3B1404C 18029904
	v_pk_mul_f32 v[78:79], v[4:5], v[78:79]                    // 000000005E7C: D3B1404E 18029D04
	v_cvt_pk_fp8_f32 v76, v76, v77                             // 000000005E84: D2A2004C 00029B4C
	v_cvt_pk_fp8_f32 v76, v78, v79 op_sel:[0,0,1]              // 000000005E8C: D2A2404C 00029F4E
	v_pk_mul_f32 v[104:105], v[4:5], v[104:105]                // 000000005E94: D3B14068 1802D104
	v_pk_mul_f32 v[106:107], v[4:5], v[106:107]                // 000000005E9C: D3B1406A 1802D504
	v_cvt_pk_fp8_f32 v104, v104, v105                          // 000000005EA4: D2A20068 0002D368
	v_cvt_pk_fp8_f32 v104, v106, v107 op_sel:[0,0,1]           // 000000005EAC: D2A24068 0002D76A
	v_rcp_f32_e32 v129, v129                                   // 000000005EB4: 7F024581
	v_mov_b32_e32 v130, 0x358637bd                             // 000000005EB8: 7F0402FF 358637BD
	v_max3_f32 v130, |v80|, |v81|, v130                        // 000000005EC0: D1D30382 060AA350
	v_max3_f32 v130, |v82|, |v83|, v130                        // 000000005EC8: D1D30382 060AA752
	v_max3_f32 v130, |v108|, |v109|, v130                      // 000000005ED0: D1D30382 060ADB6C
	v_max3_f32 v130, |v110|, |v111|, v130                      // 000000005ED8: D1D30382 060ADF6E
	ds_write_b32 v135, v130                                    // 000000005EE0: D81A0000 00008287
	s_waitcnt lgkmcnt(0)                                       // 000000005EE8: BF8CC07F
	s_barrier                                                  // 000000005EEC: BF8A0000
	ds_read_b32 v4, v136                                       // 000000005EF0: D86C0000 04000088
	ds_read_b32 v5, v136 offset:64                             // 000000005EF8: D86C0040 05000088
	ds_read_b32 v6, v136 offset:128                            // 000000005F00: D86C0080 06000088
	ds_read_b32 v7, v136 offset:192                            // 000000005F08: D86C00C0 07000088
	ds_read_b32 v8, v136 offset:256                            // 000000005F10: D86C0100 08000088
	ds_read_b32 v9, v136 offset:320                            // 000000005F18: D86C0140 09000088
	ds_read_b32 v10, v136 offset:384                           // 000000005F20: D86C0180 0A000088
	ds_read_b32 v11, v136 offset:448                           // 000000005F28: D86C01C0 0B000088
	ds_read_b32 v12, v136 offset:512                           // 000000005F30: D86C0200 0C000088
	ds_read_b32 v13, v136 offset:576                           // 000000005F38: D86C0240 0D000088
	ds_read_b32 v14, v136 offset:640                           // 000000005F40: D86C0280 0E000088
	ds_read_b32 v15, v136 offset:704                           // 000000005F48: D86C02C0 0F000088
	ds_read_b32 v16, v136 offset:768                           // 000000005F50: D86C0300 10000088
	ds_read_b32 v17, v136 offset:832                           // 000000005F58: D86C0340 11000088
	ds_read_b32 v18, v136 offset:896                           // 000000005F60: D86C0380 12000088
	ds_read_b32 v19, v136 offset:960                           // 000000005F68: D86C03C0 13000088
	s_waitcnt lgkmcnt(0)                                       // 000000005F70: BF8CC07F
	s_barrier                                                  // 000000005F74: BF8A0000
	v_max3_f32 v130, |v4|, |v5|, v130                          // 000000005F78: D1D30382 060A0B04
	v_max3_f32 v130, |v6|, |v7|, v130                          // 000000005F80: D1D30382 060A0F06
	v_max3_f32 v130, |v8|, |v9|, v130                          // 000000005F88: D1D30382 060A1308
	v_max3_f32 v130, |v10|, |v11|, v130                        // 000000005F90: D1D30382 060A170A
	v_max3_f32 v130, |v12|, |v13|, v130                        // 000000005F98: D1D30382 060A1B0C
	v_max3_f32 v130, |v14|, |v15|, v130                        // 000000005FA0: D1D30382 060A1F0E
	v_max3_f32 v130, |v16|, |v17|, v130                        // 000000005FA8: D1D30382 060A2310
	v_max3_f32 v130, |v18|, |v19|, v130                        // 000000005FB0: D1D30382 060A2712
	v_rcp_f32_e32 v130, v130                                   // 000000005FB8: 7F044582
	v_mov_b32_e32 v4, 0x43700000                               // 000000005FBC: 7E0802FF 43700000
	v_mul_f32_e32 v130, v4, v130                               // 000000005FC4: 0B050504
	v_mov_b32_e32 v4, v130                                     // 000000005FC8: 7E080382
	v_mov_b32_e32 v5, v4                                       // 000000005FCC: 7E0A0304
	v_pk_mul_f32 v[80:81], v[4:5], v[80:81]                    // 000000005FD0: D3B14050 1802A104
	v_pk_mul_f32 v[82:83], v[4:5], v[82:83]                    // 000000005FD8: D3B14052 1802A504
	v_cvt_pk_fp8_f32 v80, v80, v81                             // 000000005FE0: D2A20050 0002A350
	v_cvt_pk_fp8_f32 v80, v82, v83 op_sel:[0,0,1]              // 000000005FE8: D2A24050 0002A752
	v_pk_mul_f32 v[108:109], v[4:5], v[108:109]                // 000000005FF0: D3B1406C 1802D904
	v_pk_mul_f32 v[110:111], v[4:5], v[110:111]                // 000000005FF8: D3B1406E 1802DD04
	v_cvt_pk_fp8_f32 v108, v108, v109                          // 000000006000: D2A2006C 0002DB6C
	v_cvt_pk_fp8_f32 v108, v110, v111 op_sel:[0,0,1]           // 000000006008: D2A2406C 0002DF6E
	v_rcp_f32_e32 v130, v130                                   // 000000006010: 7F044582
	v_mov_b32_e32 v131, 0x358637bd                             // 000000006014: 7F0602FF 358637BD
	v_max3_f32 v131, |v84|, |v85|, v131                        // 00000000601C: D1D30383 060EAB54
	v_max3_f32 v131, |v86|, |v87|, v131                        // 000000006024: D1D30383 060EAF56
	v_max3_f32 v131, |v112|, |v113|, v131                      // 00000000602C: D1D30383 060EE370
	v_max3_f32 v131, |v114|, |v115|, v131                      // 000000006034: D1D30383 060EE772
	ds_write_b32 v135, v131                                    // 00000000603C: D81A0000 00008387
	s_waitcnt lgkmcnt(0)                                       // 000000006044: BF8CC07F
	s_barrier                                                  // 000000006048: BF8A0000
	ds_read_b32 v4, v136                                       // 00000000604C: D86C0000 04000088
	ds_read_b32 v5, v136 offset:64                             // 000000006054: D86C0040 05000088
	ds_read_b32 v6, v136 offset:128                            // 00000000605C: D86C0080 06000088
	ds_read_b32 v7, v136 offset:192                            // 000000006064: D86C00C0 07000088
	ds_read_b32 v8, v136 offset:256                            // 00000000606C: D86C0100 08000088
	ds_read_b32 v9, v136 offset:320                            // 000000006074: D86C0140 09000088
	ds_read_b32 v10, v136 offset:384                           // 00000000607C: D86C0180 0A000088
	ds_read_b32 v11, v136 offset:448                           // 000000006084: D86C01C0 0B000088
	ds_read_b32 v12, v136 offset:512                           // 00000000608C: D86C0200 0C000088
	ds_read_b32 v13, v136 offset:576                           // 000000006094: D86C0240 0D000088
	ds_read_b32 v14, v136 offset:640                           // 00000000609C: D86C0280 0E000088
	ds_read_b32 v15, v136 offset:704                           // 0000000060A4: D86C02C0 0F000088
	ds_read_b32 v16, v136 offset:768                           // 0000000060AC: D86C0300 10000088
	ds_read_b32 v17, v136 offset:832                           // 0000000060B4: D86C0340 11000088
	ds_read_b32 v18, v136 offset:896                           // 0000000060BC: D86C0380 12000088
	ds_read_b32 v19, v136 offset:960                           // 0000000060C4: D86C03C0 13000088
	s_waitcnt lgkmcnt(0)                                       // 0000000060CC: BF8CC07F
	s_barrier                                                  // 0000000060D0: BF8A0000
	v_max3_f32 v131, |v4|, |v5|, v131                          // 0000000060D4: D1D30383 060E0B04
	v_max3_f32 v131, |v6|, |v7|, v131                          // 0000000060DC: D1D30383 060E0F06
	v_max3_f32 v131, |v8|, |v9|, v131                          // 0000000060E4: D1D30383 060E1308
	v_max3_f32 v131, |v10|, |v11|, v131                        // 0000000060EC: D1D30383 060E170A
	v_max3_f32 v131, |v12|, |v13|, v131                        // 0000000060F4: D1D30383 060E1B0C
	v_max3_f32 v131, |v14|, |v15|, v131                        // 0000000060FC: D1D30383 060E1F0E
	v_max3_f32 v131, |v16|, |v17|, v131                        // 000000006104: D1D30383 060E2310
	v_max3_f32 v131, |v18|, |v19|, v131                        // 00000000610C: D1D30383 060E2712
	v_rcp_f32_e32 v131, v131                                   // 000000006114: 7F064583
	v_mov_b32_e32 v4, 0x43700000                               // 000000006118: 7E0802FF 43700000
	v_mul_f32_e32 v131, v4, v131                               // 000000006120: 0B070704
	v_mov_b32_e32 v4, v131                                     // 000000006124: 7E080383
	v_mov_b32_e32 v5, v4                                       // 000000006128: 7E0A0304
	v_pk_mul_f32 v[84:85], v[4:5], v[84:85]                    // 00000000612C: D3B14054 1802A904
	v_pk_mul_f32 v[86:87], v[4:5], v[86:87]                    // 000000006134: D3B14056 1802AD04
	v_cvt_pk_fp8_f32 v84, v84, v85                             // 00000000613C: D2A20054 0002AB54
	v_cvt_pk_fp8_f32 v84, v86, v87 op_sel:[0,0,1]              // 000000006144: D2A24054 0002AF56
	v_pk_mul_f32 v[112:113], v[4:5], v[112:113]                // 00000000614C: D3B14070 1802E104
	v_pk_mul_f32 v[114:115], v[4:5], v[114:115]                // 000000006154: D3B14072 1802E504
	v_cvt_pk_fp8_f32 v112, v112, v113                          // 00000000615C: D2A20070 0002E370
	v_cvt_pk_fp8_f32 v112, v114, v115 op_sel:[0,0,1]           // 000000006164: D2A24070 0002E772
	v_rcp_f32_e32 v131, v131                                   // 00000000616C: 7F064583
	v_mov_b32_e32 v132, 0x358637bd                             // 000000006170: 7F0802FF 358637BD
	v_max3_f32 v132, |v88|, |v89|, v132                        // 000000006178: D1D30384 0612B358
	v_max3_f32 v132, |v90|, |v91|, v132                        // 000000006180: D1D30384 0612B75A
	v_max3_f32 v132, |v116|, |v117|, v132                      // 000000006188: D1D30384 0612EB74
	v_max3_f32 v132, |v118|, |v119|, v132                      // 000000006190: D1D30384 0612EF76
	ds_write_b32 v135, v132                                    // 000000006198: D81A0000 00008487
	s_waitcnt lgkmcnt(0)                                       // 0000000061A0: BF8CC07F
	s_barrier                                                  // 0000000061A4: BF8A0000
	ds_read_b32 v4, v136                                       // 0000000061A8: D86C0000 04000088
	ds_read_b32 v5, v136 offset:64                             // 0000000061B0: D86C0040 05000088
	ds_read_b32 v6, v136 offset:128                            // 0000000061B8: D86C0080 06000088
	ds_read_b32 v7, v136 offset:192                            // 0000000061C0: D86C00C0 07000088
	ds_read_b32 v8, v136 offset:256                            // 0000000061C8: D86C0100 08000088
	ds_read_b32 v9, v136 offset:320                            // 0000000061D0: D86C0140 09000088
	ds_read_b32 v10, v136 offset:384                           // 0000000061D8: D86C0180 0A000088
	ds_read_b32 v11, v136 offset:448                           // 0000000061E0: D86C01C0 0B000088
	ds_read_b32 v12, v136 offset:512                           // 0000000061E8: D86C0200 0C000088
	ds_read_b32 v13, v136 offset:576                           // 0000000061F0: D86C0240 0D000088
	ds_read_b32 v14, v136 offset:640                           // 0000000061F8: D86C0280 0E000088
	ds_read_b32 v15, v136 offset:704                           // 000000006200: D86C02C0 0F000088
	ds_read_b32 v16, v136 offset:768                           // 000000006208: D86C0300 10000088
	ds_read_b32 v17, v136 offset:832                           // 000000006210: D86C0340 11000088
	ds_read_b32 v18, v136 offset:896                           // 000000006218: D86C0380 12000088
	ds_read_b32 v19, v136 offset:960                           // 000000006220: D86C03C0 13000088
	s_waitcnt lgkmcnt(0)                                       // 000000006228: BF8CC07F
	s_barrier                                                  // 00000000622C: BF8A0000
	v_max3_f32 v132, |v4|, |v5|, v132                          // 000000006230: D1D30384 06120B04
	v_max3_f32 v132, |v6|, |v7|, v132                          // 000000006238: D1D30384 06120F06
	v_max3_f32 v132, |v8|, |v9|, v132                          // 000000006240: D1D30384 06121308
	v_max3_f32 v132, |v10|, |v11|, v132                        // 000000006248: D1D30384 0612170A
	v_max3_f32 v132, |v12|, |v13|, v132                        // 000000006250: D1D30384 06121B0C
	v_max3_f32 v132, |v14|, |v15|, v132                        // 000000006258: D1D30384 06121F0E
	v_max3_f32 v132, |v16|, |v17|, v132                        // 000000006260: D1D30384 06122310
	v_max3_f32 v132, |v18|, |v19|, v132                        // 000000006268: D1D30384 06122712
	v_rcp_f32_e32 v132, v132                                   // 000000006270: 7F084584
	v_mov_b32_e32 v4, 0x43700000                               // 000000006274: 7E0802FF 43700000
	v_mul_f32_e32 v132, v4, v132                               // 00000000627C: 0B090904
	v_mov_b32_e32 v4, v132                                     // 000000006280: 7E080384
	v_mov_b32_e32 v5, v4                                       // 000000006284: 7E0A0304
	v_pk_mul_f32 v[88:89], v[4:5], v[88:89]                    // 000000006288: D3B14058 1802B104
	v_pk_mul_f32 v[90:91], v[4:5], v[90:91]                    // 000000006290: D3B1405A 1802B504
	v_cvt_pk_fp8_f32 v88, v88, v89                             // 000000006298: D2A20058 0002B358
	v_cvt_pk_fp8_f32 v88, v90, v91 op_sel:[0,0,1]              // 0000000062A0: D2A24058 0002B75A
	v_pk_mul_f32 v[116:117], v[4:5], v[116:117]                // 0000000062A8: D3B14074 1802E904
	v_pk_mul_f32 v[118:119], v[4:5], v[118:119]                // 0000000062B0: D3B14076 1802ED04
	v_cvt_pk_fp8_f32 v116, v116, v117                          // 0000000062B8: D2A20074 0002EB74
	v_cvt_pk_fp8_f32 v116, v118, v119 op_sel:[0,0,1]           // 0000000062C0: D2A24074 0002EF76
	v_rcp_f32_e32 v132, v132                                   // 0000000062C8: 7F084584
	v_mov_b32_e32 v133, 0x358637bd                             // 0000000062CC: 7F0A02FF 358637BD
	v_max3_f32 v133, |v92|, |v93|, v133                        // 0000000062D4: D1D30385 0616BB5C
	v_max3_f32 v133, |v94|, |v95|, v133                        // 0000000062DC: D1D30385 0616BF5E
	v_max3_f32 v133, |v120|, |v121|, v133                      // 0000000062E4: D1D30385 0616F378
	v_max3_f32 v133, |v122|, |v123|, v133                      // 0000000062EC: D1D30385 0616F77A
	ds_write_b32 v135, v133                                    // 0000000062F4: D81A0000 00008587
	s_waitcnt lgkmcnt(0)                                       // 0000000062FC: BF8CC07F
	s_barrier                                                  // 000000006300: BF8A0000
	ds_read_b32 v4, v136                                       // 000000006304: D86C0000 04000088
	ds_read_b32 v5, v136 offset:64                             // 00000000630C: D86C0040 05000088
	ds_read_b32 v6, v136 offset:128                            // 000000006314: D86C0080 06000088
	ds_read_b32 v7, v136 offset:192                            // 00000000631C: D86C00C0 07000088
	ds_read_b32 v8, v136 offset:256                            // 000000006324: D86C0100 08000088
	ds_read_b32 v9, v136 offset:320                            // 00000000632C: D86C0140 09000088
	ds_read_b32 v10, v136 offset:384                           // 000000006334: D86C0180 0A000088
	ds_read_b32 v11, v136 offset:448                           // 00000000633C: D86C01C0 0B000088
	ds_read_b32 v12, v136 offset:512                           // 000000006344: D86C0200 0C000088
	ds_read_b32 v13, v136 offset:576                           // 00000000634C: D86C0240 0D000088
	ds_read_b32 v14, v136 offset:640                           // 000000006354: D86C0280 0E000088
	ds_read_b32 v15, v136 offset:704                           // 00000000635C: D86C02C0 0F000088
	ds_read_b32 v16, v136 offset:768                           // 000000006364: D86C0300 10000088
	ds_read_b32 v17, v136 offset:832                           // 00000000636C: D86C0340 11000088
	ds_read_b32 v18, v136 offset:896                           // 000000006374: D86C0380 12000088
	ds_read_b32 v19, v136 offset:960                           // 00000000637C: D86C03C0 13000088
	s_waitcnt lgkmcnt(0)                                       // 000000006384: BF8CC07F
	s_barrier                                                  // 000000006388: BF8A0000
	v_max3_f32 v133, |v4|, |v5|, v133                          // 00000000638C: D1D30385 06160B04
	v_max3_f32 v133, |v6|, |v7|, v133                          // 000000006394: D1D30385 06160F06
	v_max3_f32 v133, |v8|, |v9|, v133                          // 00000000639C: D1D30385 06161308
	v_max3_f32 v133, |v10|, |v11|, v133                        // 0000000063A4: D1D30385 0616170A
	v_max3_f32 v133, |v12|, |v13|, v133                        // 0000000063AC: D1D30385 06161B0C
	v_max3_f32 v133, |v14|, |v15|, v133                        // 0000000063B4: D1D30385 06161F0E
	v_max3_f32 v133, |v16|, |v17|, v133                        // 0000000063BC: D1D30385 06162310
	v_max3_f32 v133, |v18|, |v19|, v133                        // 0000000063C4: D1D30385 06162712
	v_rcp_f32_e32 v133, v133                                   // 0000000063CC: 7F0A4585
	v_mov_b32_e32 v4, 0x43700000                               // 0000000063D0: 7E0802FF 43700000
	v_mul_f32_e32 v133, v4, v133                               // 0000000063D8: 0B0B0B04
	v_mov_b32_e32 v4, v133                                     // 0000000063DC: 7E080385
	v_mov_b32_e32 v5, v4                                       // 0000000063E0: 7E0A0304
	v_pk_mul_f32 v[92:93], v[4:5], v[92:93]                    // 0000000063E4: D3B1405C 1802B904
	v_pk_mul_f32 v[94:95], v[4:5], v[94:95]                    // 0000000063EC: D3B1405E 1802BD04
	v_cvt_pk_fp8_f32 v92, v92, v93                             // 0000000063F4: D2A2005C 0002BB5C
	v_cvt_pk_fp8_f32 v92, v94, v95 op_sel:[0,0,1]              // 0000000063FC: D2A2405C 0002BF5E
	v_pk_mul_f32 v[120:121], v[4:5], v[120:121]                // 000000006404: D3B14078 1802F104
	v_pk_mul_f32 v[122:123], v[4:5], v[122:123]                // 00000000640C: D3B1407A 1802F504
	v_cvt_pk_fp8_f32 v120, v120, v121                          // 000000006414: D2A20078 0002F378
	v_cvt_pk_fp8_f32 v120, v122, v123 op_sel:[0,0,1]           // 00000000641C: D2A24078 0002F77A
	v_rcp_f32_e32 v133, v133                                   // 000000006424: 7F0A4585
	v_mov_b32_e32 v134, 0x358637bd                             // 000000006428: 7F0C02FF 358637BD
	v_max3_f32 v134, |v96|, |v97|, v134                        // 000000006430: D1D30386 061AC360
	v_max3_f32 v134, |v98|, |v99|, v134                        // 000000006438: D1D30386 061AC762
	v_max3_f32 v134, |v124|, |v125|, v134                      // 000000006440: D1D30386 061AFB7C
	v_max3_f32 v134, |v126|, |v127|, v134                      // 000000006448: D1D30386 061AFF7E
	ds_write_b32 v135, v134                                    // 000000006450: D81A0000 00008687
	s_waitcnt lgkmcnt(0)                                       // 000000006458: BF8CC07F
	s_barrier                                                  // 00000000645C: BF8A0000
	ds_read_b32 v4, v136                                       // 000000006460: D86C0000 04000088
	ds_read_b32 v5, v136 offset:64                             // 000000006468: D86C0040 05000088
	ds_read_b32 v6, v136 offset:128                            // 000000006470: D86C0080 06000088
	ds_read_b32 v7, v136 offset:192                            // 000000006478: D86C00C0 07000088
	ds_read_b32 v8, v136 offset:256                            // 000000006480: D86C0100 08000088
	ds_read_b32 v9, v136 offset:320                            // 000000006488: D86C0140 09000088
	ds_read_b32 v10, v136 offset:384                           // 000000006490: D86C0180 0A000088
	ds_read_b32 v11, v136 offset:448                           // 000000006498: D86C01C0 0B000088
	ds_read_b32 v12, v136 offset:512                           // 0000000064A0: D86C0200 0C000088
	ds_read_b32 v13, v136 offset:576                           // 0000000064A8: D86C0240 0D000088
	ds_read_b32 v14, v136 offset:640                           // 0000000064B0: D86C0280 0E000088
	ds_read_b32 v15, v136 offset:704                           // 0000000064B8: D86C02C0 0F000088
	ds_read_b32 v16, v136 offset:768                           // 0000000064C0: D86C0300 10000088
	ds_read_b32 v17, v136 offset:832                           // 0000000064C8: D86C0340 11000088
	ds_read_b32 v18, v136 offset:896                           // 0000000064D0: D86C0380 12000088
	ds_read_b32 v19, v136 offset:960                           // 0000000064D8: D86C03C0 13000088
	s_waitcnt lgkmcnt(0)                                       // 0000000064E0: BF8CC07F
	s_barrier                                                  // 0000000064E4: BF8A0000
	v_max3_f32 v134, |v4|, |v5|, v134                          // 0000000064E8: D1D30386 061A0B04
	v_max3_f32 v134, |v6|, |v7|, v134                          // 0000000064F0: D1D30386 061A0F06
	v_max3_f32 v134, |v8|, |v9|, v134                          // 0000000064F8: D1D30386 061A1308
	v_max3_f32 v134, |v10|, |v11|, v134                        // 000000006500: D1D30386 061A170A
	v_max3_f32 v134, |v12|, |v13|, v134                        // 000000006508: D1D30386 061A1B0C
	v_max3_f32 v134, |v14|, |v15|, v134                        // 000000006510: D1D30386 061A1F0E
	v_max3_f32 v134, |v16|, |v17|, v134                        // 000000006518: D1D30386 061A2310
	v_max3_f32 v134, |v18|, |v19|, v134                        // 000000006520: D1D30386 061A2712
	v_rcp_f32_e32 v134, v134                                   // 000000006528: 7F0C4586
	v_mov_b32_e32 v4, 0x43700000                               // 00000000652C: 7E0802FF 43700000
	v_mul_f32_e32 v134, v4, v134                               // 000000006534: 0B0D0D04
	v_mov_b32_e32 v4, v134                                     // 000000006538: 7E080386
	v_mov_b32_e32 v5, v4                                       // 00000000653C: 7E0A0304
	v_pk_mul_f32 v[96:97], v[4:5], v[96:97]                    // 000000006540: D3B14060 1802C104
	v_pk_mul_f32 v[98:99], v[4:5], v[98:99]                    // 000000006548: D3B14062 1802C504
	v_cvt_pk_fp8_f32 v96, v96, v97                             // 000000006550: D2A20060 0002C360
	v_cvt_pk_fp8_f32 v96, v98, v99 op_sel:[0,0,1]              // 000000006558: D2A24060 0002C762
	v_pk_mul_f32 v[124:125], v[4:5], v[124:125]                // 000000006560: D3B1407C 1802F904
	v_pk_mul_f32 v[126:127], v[4:5], v[126:127]                // 000000006568: D3B1407E 1802FD04
	v_cvt_pk_fp8_f32 v124, v124, v125                          // 000000006570: D2A2007C 0002FB7C
	v_cvt_pk_fp8_f32 v124, v126, v127 op_sel:[0,0,1]           // 000000006578: D2A2407C 0002FF7E
	v_rcp_f32_e32 v134, v134                                   // 000000006580: 7F0C4586
	v_lshrrev_b32_e32 v4, 5, v0                                // 000000006584: 20080085
	v_mul_lo_u32 v20, 34, v4                                   // 000000006588: D2850014 000208A2
	v_and_b32_e32 v4, 31, v0                                   // 000000006590: 2608009F
	v_lshrrev_b32_e32 v5, 4, v4                                // 000000006594: 200A0884
	v_add_u32_e32 v20, v5, v20                                 // 000000006598: 68282905
	v_and_b32_e32 v4, 15, v0                                   // 00000000659C: 2608008F
	v_mul_lo_u32 v5, 2, v4                                     // 0000000065A0: D2850005 00020882
	v_add_u32_e32 v20, v5, v20                                 // 0000000065A8: 68282905
	s_mul_i32 s60, s7, 0x44                                    // 0000000065AC: 923CFF07 00000044
	v_add_u32_e32 v20, s60, v20                                // 0000000065B4: 6828283C
	v_lshlrev_b32_e32 v20, 2, v20                              // 0000000065B8: 24282882
	ds_write_b32 v20, v72                                      // 0000000065BC: D81A0000 00004814
	ds_write_b32 v20, v76 offset:2176                          // 0000000065C4: D81A0880 00004C14
	ds_write_b32 v20, v80 offset:4352                          // 0000000065CC: D81A1100 00005014
	ds_write_b32 v20, v84 offset:6528                          // 0000000065D4: D81A1980 00005414
	ds_write_b32 v20, v88 offset:8704                          // 0000000065DC: D81A2200 00005814
	ds_write_b32 v20, v92 offset:10880                         // 0000000065E4: D81A2A80 00005C14
	ds_write_b32 v20, v96 offset:13056                         // 0000000065EC: D81A3300 00006014
	ds_write_b32 v20, v100 offset:1088                         // 0000000065F4: D81A0440 00006414
	ds_write_b32 v20, v104 offset:3264                         // 0000000065FC: D81A0CC0 00006814
	ds_write_b32 v20, v108 offset:5440                         // 000000006604: D81A1540 00006C14
	ds_write_b32 v20, v112 offset:7616                         // 00000000660C: D81A1DC0 00007014
	ds_write_b32 v20, v116 offset:9792                         // 000000006614: D81A2640 00007414
	ds_write_b32 v20, v120 offset:11968                        // 00000000661C: D81A2EC0 00007814
	ds_write_b32 v20, v124 offset:14144                        // 000000006624: D81A3740 00007C14
	v_lshrrev_b32_e32 v4, 5, v0                                // 00000000662C: 20080085
	v_xor_b32_e32 v5, 1, v4                                    // 000000006630: 2A0A0881
	s_mul_i32 s60, s65, 1                                      // 000000006634: 923C8141
	s_cmp_eq_u32 s88, 0                                        // 000000006638: BF068058
	s_cselect_b32 s61, 1, 8                                    // 00000000663C: 853D8881
	s_mul_i32 s60, s61, s60                                    // 000000006640: 923C3C3D
	v_readlane_b32 s82, v3, 0                                  // 000000006644: D2890052 00010103
	s_lshr_b32 s61, s82, 24                                    // 00000000664C: 8F3D9852
	s_and_b32 s82, s82, 0xffffff                               // 000000006650: 8652FF52 00FFFFFF
	s_mul_i32 s82, s82, s71                                    // 000000006658: 92524752
	s_mul_i32 s61, s60, s61                                    // 00000000665C: 923D3D3C
	s_add_u32 s82, s82, s61                                    // 000000006660: 80523D52
	v_mul_lo_u32 v6, v5, s82                                   // 000000006664: D2850006 0000A505
	v_readlane_b32 s82, v3, 1                                  // 00000000666C: D2890052 00010303
	s_lshr_b32 s61, s82, 24                                    // 000000006674: 8F3D9852
	s_and_b32 s82, s82, 0xffffff                               // 000000006678: 8652FF52 00FFFFFF
	s_mul_i32 s82, s82, s71                                    // 000000006680: 92524752
	s_mul_i32 s61, s60, s61                                    // 000000006684: 923D3D3C
	s_add_u32 s82, s82, s61                                    // 000000006688: 80523D52
	v_mul_lo_u32 v7, v4, s82                                   // 00000000668C: D2850007 0000A504
	v_add_u32_e32 v56, v6, v7                                  // 000000006694: 68700F06
	v_readlane_b32 s82, v3, 2                                  // 000000006698: D2890052 00010503
	s_lshr_b32 s61, s82, 24                                    // 0000000066A0: 8F3D9852
	s_and_b32 s82, s82, 0xffffff                               // 0000000066A4: 8652FF52 00FFFFFF
	s_mul_i32 s82, s82, s71                                    // 0000000066AC: 92524752
	s_mul_i32 s61, s60, s61                                    // 0000000066B0: 923D3D3C
	s_add_u32 s82, s82, s61                                    // 0000000066B4: 80523D52
	v_mul_lo_u32 v6, v5, s82                                   // 0000000066B8: D2850006 0000A505
	v_readlane_b32 s82, v3, 3                                  // 0000000066C0: D2890052 00010703
	s_lshr_b32 s61, s82, 24                                    // 0000000066C8: 8F3D9852
	s_and_b32 s82, s82, 0xffffff                               // 0000000066CC: 8652FF52 00FFFFFF
	s_mul_i32 s82, s82, s71                                    // 0000000066D4: 92524752
	s_mul_i32 s61, s60, s61                                    // 0000000066D8: 923D3D3C
	s_add_u32 s82, s82, s61                                    // 0000000066DC: 80523D52
	v_mul_lo_u32 v7, v4, s82                                   // 0000000066E0: D2850007 0000A504
	v_add_u32_e32 v57, v6, v7                                  // 0000000066E8: 68720F06
	v_readlane_b32 s82, v3, 4                                  // 0000000066EC: D2890052 00010903
	s_lshr_b32 s61, s82, 24                                    // 0000000066F4: 8F3D9852
	s_and_b32 s82, s82, 0xffffff                               // 0000000066F8: 8652FF52 00FFFFFF
	s_mul_i32 s82, s82, s71                                    // 000000006700: 92524752
	s_mul_i32 s61, s60, s61                                    // 000000006704: 923D3D3C
	s_add_u32 s82, s82, s61                                    // 000000006708: 80523D52
	v_mul_lo_u32 v6, v5, s82                                   // 00000000670C: D2850006 0000A505
	v_readlane_b32 s82, v3, 5                                  // 000000006714: D2890052 00010B03
	s_lshr_b32 s61, s82, 24                                    // 00000000671C: 8F3D9852
	s_and_b32 s82, s82, 0xffffff                               // 000000006720: 8652FF52 00FFFFFF
	s_mul_i32 s82, s82, s71                                    // 000000006728: 92524752
	s_mul_i32 s61, s60, s61                                    // 00000000672C: 923D3D3C
	s_add_u32 s82, s82, s61                                    // 000000006730: 80523D52
	v_mul_lo_u32 v7, v4, s82                                   // 000000006734: D2850007 0000A504
	v_add_u32_e32 v58, v6, v7                                  // 00000000673C: 68740F06
	v_readlane_b32 s82, v3, 6                                  // 000000006740: D2890052 00010D03
	s_lshr_b32 s61, s82, 24                                    // 000000006748: 8F3D9852
	s_and_b32 s82, s82, 0xffffff                               // 00000000674C: 8652FF52 00FFFFFF
	s_mul_i32 s82, s82, s71                                    // 000000006754: 92524752
	s_mul_i32 s61, s60, s61                                    // 000000006758: 923D3D3C
	s_add_u32 s82, s82, s61                                    // 00000000675C: 80523D52
	v_mul_lo_u32 v6, v5, s82                                   // 000000006760: D2850006 0000A505
	v_readlane_b32 s82, v3, 7                                  // 000000006768: D2890052 00010F03
	s_lshr_b32 s61, s82, 24                                    // 000000006770: 8F3D9852
	s_and_b32 s82, s82, 0xffffff                               // 000000006774: 8652FF52 00FFFFFF
	s_mul_i32 s82, s82, s71                                    // 00000000677C: 92524752
	s_mul_i32 s61, s60, s61                                    // 000000006780: 923D3D3C
	s_add_u32 s82, s82, s61                                    // 000000006784: 80523D52
	v_mul_lo_u32 v7, v4, s82                                   // 000000006788: D2850007 0000A504
	v_add_u32_e32 v59, v6, v7                                  // 000000006790: 68760F06
	v_readlane_b32 s82, v3, 8                                  // 000000006794: D2890052 00011103
	s_lshr_b32 s61, s82, 24                                    // 00000000679C: 8F3D9852
	s_and_b32 s82, s82, 0xffffff                               // 0000000067A0: 8652FF52 00FFFFFF
	s_mul_i32 s82, s82, s71                                    // 0000000067A8: 92524752
	s_mul_i32 s61, s60, s61                                    // 0000000067AC: 923D3D3C
	s_add_u32 s82, s82, s61                                    // 0000000067B0: 80523D52
	v_mul_lo_u32 v6, v5, s82                                   // 0000000067B4: D2850006 0000A505
	v_readlane_b32 s82, v3, 9                                  // 0000000067BC: D2890052 00011303
	s_lshr_b32 s61, s82, 24                                    // 0000000067C4: 8F3D9852
	s_and_b32 s82, s82, 0xffffff                               // 0000000067C8: 8652FF52 00FFFFFF
	s_mul_i32 s82, s82, s71                                    // 0000000067D0: 92524752
	s_mul_i32 s61, s60, s61                                    // 0000000067D4: 923D3D3C
	s_add_u32 s82, s82, s61                                    // 0000000067D8: 80523D52
	v_mul_lo_u32 v7, v4, s82                                   // 0000000067DC: D2850007 0000A504
	v_add_u32_e32 v60, v6, v7                                  // 0000000067E4: 68780F06
	v_readlane_b32 s82, v3, 10                                 // 0000000067E8: D2890052 00011503
	s_lshr_b32 s61, s82, 24                                    // 0000000067F0: 8F3D9852
	s_and_b32 s82, s82, 0xffffff                               // 0000000067F4: 8652FF52 00FFFFFF
	s_mul_i32 s82, s82, s71                                    // 0000000067FC: 92524752
	s_mul_i32 s61, s60, s61                                    // 000000006800: 923D3D3C
	s_add_u32 s82, s82, s61                                    // 000000006804: 80523D52
	v_mul_lo_u32 v6, v5, s82                                   // 000000006808: D2850006 0000A505
	v_readlane_b32 s82, v3, 11                                 // 000000006810: D2890052 00011703
	s_lshr_b32 s61, s82, 24                                    // 000000006818: 8F3D9852
	s_and_b32 s82, s82, 0xffffff                               // 00000000681C: 8652FF52 00FFFFFF
	s_mul_i32 s82, s82, s71                                    // 000000006824: 92524752
	s_mul_i32 s61, s60, s61                                    // 000000006828: 923D3D3C
	s_add_u32 s82, s82, s61                                    // 00000000682C: 80523D52
	v_mul_lo_u32 v7, v4, s82                                   // 000000006830: D2850007 0000A504
	v_add_u32_e32 v61, v6, v7                                  // 000000006838: 687A0F06
	v_readlane_b32 s82, v3, 12                                 // 00000000683C: D2890052 00011903
	s_lshr_b32 s61, s82, 24                                    // 000000006844: 8F3D9852
	s_and_b32 s82, s82, 0xffffff                               // 000000006848: 8652FF52 00FFFFFF
	s_mul_i32 s82, s82, s71                                    // 000000006850: 92524752
	s_mul_i32 s61, s60, s61                                    // 000000006854: 923D3D3C
	s_add_u32 s82, s82, s61                                    // 000000006858: 80523D52
	v_mul_lo_u32 v6, v5, s82                                   // 00000000685C: D2850006 0000A505
	v_readlane_b32 s82, v3, 13                                 // 000000006864: D2890052 00011B03
	s_lshr_b32 s61, s82, 24                                    // 00000000686C: 8F3D9852
	s_and_b32 s82, s82, 0xffffff                               // 000000006870: 8652FF52 00FFFFFF
	s_mul_i32 s82, s82, s71                                    // 000000006878: 92524752
	s_mul_i32 s61, s60, s61                                    // 00000000687C: 923D3D3C
	s_add_u32 s82, s82, s61                                    // 000000006880: 80523D52
	v_mul_lo_u32 v7, v4, s82                                   // 000000006884: D2850007 0000A504
	v_add_u32_e32 v62, v6, v7                                  // 00000000688C: 687C0F06
	v_readlane_b32 s82, v3, 14                                 // 000000006890: D2890052 00011D03
	s_lshr_b32 s61, s82, 24                                    // 000000006898: 8F3D9852
	s_and_b32 s82, s82, 0xffffff                               // 00000000689C: 8652FF52 00FFFFFF
	s_mul_i32 s82, s82, s71                                    // 0000000068A4: 92524752
	s_mul_i32 s61, s60, s61                                    // 0000000068A8: 923D3D3C
	s_add_u32 s82, s82, s61                                    // 0000000068AC: 80523D52
	v_mul_lo_u32 v6, v5, s82                                   // 0000000068B0: D2850006 0000A505
	v_readlane_b32 s82, v3, 15                                 // 0000000068B8: D2890052 00011F03
	s_lshr_b32 s61, s82, 24                                    // 0000000068C0: 8F3D9852
	s_and_b32 s82, s82, 0xffffff                               // 0000000068C4: 8652FF52 00FFFFFF
	s_mul_i32 s82, s82, s71                                    // 0000000068CC: 92524752
	s_mul_i32 s61, s60, s61                                    // 0000000068D0: 923D3D3C
	s_add_u32 s82, s82, s61                                    // 0000000068D4: 80523D52
	v_mul_lo_u32 v7, v4, s82                                   // 0000000068D8: D2850007 0000A504
	v_add_u32_e32 v63, v6, v7                                  // 0000000068E0: 687E0F06
	v_readlane_b32 s82, v3, 16                                 // 0000000068E4: D2890052 00012103
	s_lshr_b32 s61, s82, 24                                    // 0000000068EC: 8F3D9852
	s_and_b32 s82, s82, 0xffffff                               // 0000000068F0: 8652FF52 00FFFFFF
	s_mul_i32 s82, s82, s71                                    // 0000000068F8: 92524752
	s_mul_i32 s61, s60, s61                                    // 0000000068FC: 923D3D3C
	s_add_u32 s82, s82, s61                                    // 000000006900: 80523D52
	v_mul_lo_u32 v6, v5, s82                                   // 000000006904: D2850006 0000A505
	v_readlane_b32 s82, v3, 17                                 // 00000000690C: D2890052 00012303
	s_lshr_b32 s61, s82, 24                                    // 000000006914: 8F3D9852
	s_and_b32 s82, s82, 0xffffff                               // 000000006918: 8652FF52 00FFFFFF
	s_mul_i32 s82, s82, s71                                    // 000000006920: 92524752
	s_mul_i32 s61, s60, s61                                    // 000000006924: 923D3D3C
	s_add_u32 s82, s82, s61                                    // 000000006928: 80523D52
	v_mul_lo_u32 v7, v4, s82                                   // 00000000692C: D2850007 0000A504
	v_add_u32_e32 v64, v6, v7                                  // 000000006934: 68800F06
	v_readlane_b32 s82, v3, 18                                 // 000000006938: D2890052 00012503
	s_lshr_b32 s61, s82, 24                                    // 000000006940: 8F3D9852
	s_and_b32 s82, s82, 0xffffff                               // 000000006944: 8652FF52 00FFFFFF
	s_mul_i32 s82, s82, s71                                    // 00000000694C: 92524752
	s_mul_i32 s61, s60, s61                                    // 000000006950: 923D3D3C
	s_add_u32 s82, s82, s61                                    // 000000006954: 80523D52
	v_mul_lo_u32 v6, v5, s82                                   // 000000006958: D2850006 0000A505
	v_readlane_b32 s82, v3, 19                                 // 000000006960: D2890052 00012703
	s_lshr_b32 s61, s82, 24                                    // 000000006968: 8F3D9852
	s_and_b32 s82, s82, 0xffffff                               // 00000000696C: 8652FF52 00FFFFFF
	s_mul_i32 s82, s82, s71                                    // 000000006974: 92524752
	s_mul_i32 s61, s60, s61                                    // 000000006978: 923D3D3C
	s_add_u32 s82, s82, s61                                    // 00000000697C: 80523D52
	v_mul_lo_u32 v7, v4, s82                                   // 000000006980: D2850007 0000A504
	v_add_u32_e32 v65, v6, v7                                  // 000000006988: 68820F06
	v_readlane_b32 s82, v3, 20                                 // 00000000698C: D2890052 00012903
	s_lshr_b32 s61, s82, 24                                    // 000000006994: 8F3D9852
	s_and_b32 s82, s82, 0xffffff                               // 000000006998: 8652FF52 00FFFFFF
	s_mul_i32 s82, s82, s71                                    // 0000000069A0: 92524752
	s_mul_i32 s61, s60, s61                                    // 0000000069A4: 923D3D3C
	s_add_u32 s82, s82, s61                                    // 0000000069A8: 80523D52
	v_mul_lo_u32 v6, v5, s82                                   // 0000000069AC: D2850006 0000A505
	v_readlane_b32 s82, v3, 21                                 // 0000000069B4: D2890052 00012B03
	s_lshr_b32 s61, s82, 24                                    // 0000000069BC: 8F3D9852
	s_and_b32 s82, s82, 0xffffff                               // 0000000069C0: 8652FF52 00FFFFFF
	s_mul_i32 s82, s82, s71                                    // 0000000069C8: 92524752
	s_mul_i32 s61, s60, s61                                    // 0000000069CC: 923D3D3C
	s_add_u32 s82, s82, s61                                    // 0000000069D0: 80523D52
	v_mul_lo_u32 v7, v4, s82                                   // 0000000069D4: D2850007 0000A504
	v_add_u32_e32 v66, v6, v7                                  // 0000000069DC: 68840F06
	v_readlane_b32 s82, v3, 22                                 // 0000000069E0: D2890052 00012D03
	s_lshr_b32 s61, s82, 24                                    // 0000000069E8: 8F3D9852
	s_and_b32 s82, s82, 0xffffff                               // 0000000069EC: 8652FF52 00FFFFFF
	s_mul_i32 s82, s82, s71                                    // 0000000069F4: 92524752
	s_mul_i32 s61, s60, s61                                    // 0000000069F8: 923D3D3C
	s_add_u32 s82, s82, s61                                    // 0000000069FC: 80523D52
	v_mul_lo_u32 v6, v5, s82                                   // 000000006A00: D2850006 0000A505
	v_readlane_b32 s82, v3, 23                                 // 000000006A08: D2890052 00012F03
	s_lshr_b32 s61, s82, 24                                    // 000000006A10: 8F3D9852
	s_and_b32 s82, s82, 0xffffff                               // 000000006A14: 8652FF52 00FFFFFF
	s_mul_i32 s82, s82, s71                                    // 000000006A1C: 92524752
	s_mul_i32 s61, s60, s61                                    // 000000006A20: 923D3D3C
	s_add_u32 s82, s82, s61                                    // 000000006A24: 80523D52
	v_mul_lo_u32 v7, v4, s82                                   // 000000006A28: D2850007 0000A504
	v_add_u32_e32 v67, v6, v7                                  // 000000006A30: 68860F06
	v_readlane_b32 s82, v3, 24                                 // 000000006A34: D2890052 00013103
	s_lshr_b32 s61, s82, 24                                    // 000000006A3C: 8F3D9852
	s_and_b32 s82, s82, 0xffffff                               // 000000006A40: 8652FF52 00FFFFFF
	s_mul_i32 s82, s82, s71                                    // 000000006A48: 92524752
	s_mul_i32 s61, s60, s61                                    // 000000006A4C: 923D3D3C
	s_add_u32 s82, s82, s61                                    // 000000006A50: 80523D52
	v_mul_lo_u32 v6, v5, s82                                   // 000000006A54: D2850006 0000A505
	v_readlane_b32 s82, v3, 25                                 // 000000006A5C: D2890052 00013303
	s_lshr_b32 s61, s82, 24                                    // 000000006A64: 8F3D9852
	s_and_b32 s82, s82, 0xffffff                               // 000000006A68: 8652FF52 00FFFFFF
	s_mul_i32 s82, s82, s71                                    // 000000006A70: 92524752
	s_mul_i32 s61, s60, s61                                    // 000000006A74: 923D3D3C
	s_add_u32 s82, s82, s61                                    // 000000006A78: 80523D52
	v_mul_lo_u32 v7, v4, s82                                   // 000000006A7C: D2850007 0000A504
	v_add_u32_e32 v68, v6, v7                                  // 000000006A84: 68880F06
	v_readlane_b32 s82, v3, 26                                 // 000000006A88: D2890052 00013503
	s_lshr_b32 s61, s82, 24                                    // 000000006A90: 8F3D9852
	s_and_b32 s82, s82, 0xffffff                               // 000000006A94: 8652FF52 00FFFFFF
	s_mul_i32 s82, s82, s71                                    // 000000006A9C: 92524752
	s_mul_i32 s61, s60, s61                                    // 000000006AA0: 923D3D3C
	s_add_u32 s82, s82, s61                                    // 000000006AA4: 80523D52
	v_mul_lo_u32 v6, v5, s82                                   // 000000006AA8: D2850006 0000A505
	v_readlane_b32 s82, v3, 27                                 // 000000006AB0: D2890052 00013703
	s_lshr_b32 s61, s82, 24                                    // 000000006AB8: 8F3D9852
	s_and_b32 s82, s82, 0xffffff                               // 000000006ABC: 8652FF52 00FFFFFF
	s_mul_i32 s82, s82, s71                                    // 000000006AC4: 92524752
	s_mul_i32 s61, s60, s61                                    // 000000006AC8: 923D3D3C
	s_add_u32 s82, s82, s61                                    // 000000006ACC: 80523D52
	v_mul_lo_u32 v7, v4, s82                                   // 000000006AD0: D2850007 0000A504
	v_add_u32_e32 v69, v6, v7                                  // 000000006AD8: 688A0F06
	v_and_b32_e32 v4, 31, v0                                   // 000000006ADC: 2608009F
	v_lshrrev_b32_e32 v4, 1, v4                                // 000000006AE0: 20080881
	s_cmp_eq_u32 s88, 0                                        // 000000006AE4: BF068058
	s_cselect_b32 s61, 2, 4                                    // 000000006AE8: 853D8482
	v_mul_lo_u32 v4, v4, s61                                   // 000000006AEC: D2850004 00007B04
	v_and_b32_e64 v5, v0, 1                                    // 000000006AF4: D1130005 00010300
	v_add_u32_e32 v4, v4, v5                                   // 000000006AFC: 68080B04
	v_lshlrev_b32_e32 v4, 2, v4                                // 000000006B00: 24080882
	v_add_u32_e32 v56, v56, v4                                 // 000000006B04: 68700938
	v_add_u32_e32 v57, v57, v4                                 // 000000006B08: 68720939
	v_add_u32_e32 v58, v58, v4                                 // 000000006B0C: 6874093A
	v_add_u32_e32 v59, v59, v4                                 // 000000006B10: 6876093B
	v_add_u32_e32 v60, v60, v4                                 // 000000006B14: 6878093C
	v_add_u32_e32 v61, v61, v4                                 // 000000006B18: 687A093D
	v_add_u32_e32 v62, v62, v4                                 // 000000006B1C: 687C093E
	v_add_u32_e32 v63, v63, v4                                 // 000000006B20: 687E093F
	v_add_u32_e32 v64, v64, v4                                 // 000000006B24: 68800940
	v_add_u32_e32 v65, v65, v4                                 // 000000006B28: 68820941
	v_add_u32_e32 v66, v66, v4                                 // 000000006B2C: 68840942
	v_add_u32_e32 v67, v67, v4                                 // 000000006B30: 68860943
	v_add_u32_e32 v68, v68, v4                                 // 000000006B34: 68880944
	v_add_u32_e32 v69, v69, v4                                 // 000000006B38: 688A0945
	s_waitcnt lgkmcnt(0)                                       // 000000006B3C: BF8CC07F
	s_barrier                                                  // 000000006B40: BF8A0000
	ds_read_b32 v72, v21                                       // 000000006B44: D86C0000 48000015
	ds_read_b32 v73, v21 offset:64                             // 000000006B4C: D86C0040 49000015
	ds_read_b32 v74, v21 offset:2176                           // 000000006B54: D86C0880 4A000015
	ds_read_b32 v75, v21 offset:2240                           // 000000006B5C: D86C08C0 4B000015
	ds_read_b32 v76, v21 offset:4352                           // 000000006B64: D86C1100 4C000015
	ds_read_b32 v77, v21 offset:4416                           // 000000006B6C: D86C1140 4D000015
	ds_read_b32 v78, v21 offset:6528                           // 000000006B74: D86C1980 4E000015
	ds_read_b32 v79, v21 offset:6592                           // 000000006B7C: D86C19C0 4F000015
	ds_read_b32 v80, v21 offset:8704                           // 000000006B84: D86C2200 50000015
	ds_read_b32 v81, v21 offset:8768                           // 000000006B8C: D86C2240 51000015
	ds_read_b32 v82, v21 offset:10880                          // 000000006B94: D86C2A80 52000015
	ds_read_b32 v83, v21 offset:10944                          // 000000006B9C: D86C2AC0 53000015
	ds_read_b32 v84, v21 offset:13056                          // 000000006BA4: D86C3300 54000015
	ds_read_b32 v85, v21 offset:13120                          // 000000006BAC: D86C3340 55000015
	s_waitcnt lgkmcnt(0)                                       // 000000006BB4: BF8CC07F
	s_mov_b32 s36, -1                                          // 000000006BB8: BEA400C1
	s_mov_b32 s37, -1                                          // 000000006BBC: BEA500C1
	v_mov_b32_e32 v7, 0                                        // 000000006BC0: 7E0E0280
	s_or_b32 s9, s9, 0x40000                                   // 000000006BC4: 8709FF09 00040000
	s_mov_b64 exec, s[36:37]                                   // 000000006BCC: BEFE0124
	v_mov_b32_e32 v6, v56                                      // 000000006BD0: 7E0C0338
	s_mov_b64 s[60:61], 0                                      // 000000006BD4: BEBC0180
	v_readlane_b32 s82, v3, 0                                  // 000000006BD8: D2890052 00010103
	s_and_b32 s82, s82, 0xffffff                               // 000000006BE0: 8652FF52 00FFFFFF
	s_cmp_lt_u32 s82, s66                                      // 000000006BE8: BF0A4252
	s_cselect_b32 s20, s36, s60                                // 000000006BEC: 85143C24
	v_readlane_b32 s82, v3, 1                                  // 000000006BF0: D2890052 00010303
	s_and_b32 s82, s82, 0xffffff                               // 000000006BF8: 8652FF52 00FFFFFF
	s_cmp_lt_u32 s82, s66                                      // 000000006C00: BF0A4252
	s_cselect_b32 s21, s36, s60                                // 000000006C04: 85153C24
	s_mov_b64 exec, s[20:21]                                   // 000000006C08: BEFE0114
	buffer_store_dword v72, v6, s[8:11], 0 offen               // 000000006C0C: E0701000 80024806
	s_mov_b64 exec, s[36:37]                                   // 000000006C14: BEFE0124
	v_mov_b32_e32 v6, v57                                      // 000000006C18: 7E0C0339
	s_mov_b64 s[60:61], 0                                      // 000000006C1C: BEBC0180
	v_readlane_b32 s82, v3, 2                                  // 000000006C20: D2890052 00010503
	s_and_b32 s82, s82, 0xffffff                               // 000000006C28: 8652FF52 00FFFFFF
	s_cmp_lt_u32 s82, s66                                      // 000000006C30: BF0A4252
	s_cselect_b32 s20, s36, s60                                // 000000006C34: 85143C24
	v_readlane_b32 s82, v3, 3                                  // 000000006C38: D2890052 00010703
	s_and_b32 s82, s82, 0xffffff                               // 000000006C40: 8652FF52 00FFFFFF
	s_cmp_lt_u32 s82, s66                                      // 000000006C48: BF0A4252
	s_cselect_b32 s21, s36, s60                                // 000000006C4C: 85153C24
	s_mov_b64 exec, s[20:21]                                   // 000000006C50: BEFE0114
	buffer_store_dword v73, v6, s[8:11], 0 offen               // 000000006C54: E0701000 80024906
	s_mov_b64 exec, s[36:37]                                   // 000000006C5C: BEFE0124
	v_mov_b32_e32 v6, v58                                      // 000000006C60: 7E0C033A
	s_mov_b64 s[60:61], 0                                      // 000000006C64: BEBC0180
	v_readlane_b32 s82, v3, 4                                  // 000000006C68: D2890052 00010903
	s_and_b32 s82, s82, 0xffffff                               // 000000006C70: 8652FF52 00FFFFFF
	s_cmp_lt_u32 s82, s66                                      // 000000006C78: BF0A4252
	s_cselect_b32 s20, s36, s60                                // 000000006C7C: 85143C24
	v_readlane_b32 s82, v3, 5                                  // 000000006C80: D2890052 00010B03
	s_and_b32 s82, s82, 0xffffff                               // 000000006C88: 8652FF52 00FFFFFF
	s_cmp_lt_u32 s82, s66                                      // 000000006C90: BF0A4252
	s_cselect_b32 s21, s36, s60                                // 000000006C94: 85153C24
	s_mov_b64 exec, s[20:21]                                   // 000000006C98: BEFE0114
	buffer_store_dword v74, v6, s[8:11], 0 offen               // 000000006C9C: E0701000 80024A06
	s_mov_b64 exec, s[36:37]                                   // 000000006CA4: BEFE0124
	v_mov_b32_e32 v6, v59                                      // 000000006CA8: 7E0C033B
	s_mov_b64 s[60:61], 0                                      // 000000006CAC: BEBC0180
	v_readlane_b32 s82, v3, 6                                  // 000000006CB0: D2890052 00010D03
	s_and_b32 s82, s82, 0xffffff                               // 000000006CB8: 8652FF52 00FFFFFF
	s_cmp_lt_u32 s82, s66                                      // 000000006CC0: BF0A4252
	s_cselect_b32 s20, s36, s60                                // 000000006CC4: 85143C24
	v_readlane_b32 s82, v3, 7                                  // 000000006CC8: D2890052 00010F03
	s_and_b32 s82, s82, 0xffffff                               // 000000006CD0: 8652FF52 00FFFFFF
	s_cmp_lt_u32 s82, s66                                      // 000000006CD8: BF0A4252
	s_cselect_b32 s21, s36, s60                                // 000000006CDC: 85153C24
	s_mov_b64 exec, s[20:21]                                   // 000000006CE0: BEFE0114
	buffer_store_dword v75, v6, s[8:11], 0 offen               // 000000006CE4: E0701000 80024B06
	s_mov_b64 exec, s[36:37]                                   // 000000006CEC: BEFE0124
	v_mov_b32_e32 v6, v60                                      // 000000006CF0: 7E0C033C
	s_mov_b64 s[60:61], 0                                      // 000000006CF4: BEBC0180
	v_readlane_b32 s82, v3, 8                                  // 000000006CF8: D2890052 00011103
	s_and_b32 s82, s82, 0xffffff                               // 000000006D00: 8652FF52 00FFFFFF
	s_cmp_lt_u32 s82, s66                                      // 000000006D08: BF0A4252
	s_cselect_b32 s20, s36, s60                                // 000000006D0C: 85143C24
	v_readlane_b32 s82, v3, 9                                  // 000000006D10: D2890052 00011303
	s_and_b32 s82, s82, 0xffffff                               // 000000006D18: 8652FF52 00FFFFFF
	s_cmp_lt_u32 s82, s66                                      // 000000006D20: BF0A4252
	s_cselect_b32 s21, s36, s60                                // 000000006D24: 85153C24
	s_mov_b64 exec, s[20:21]                                   // 000000006D28: BEFE0114
	buffer_store_dword v76, v6, s[8:11], 0 offen               // 000000006D2C: E0701000 80024C06
	s_mov_b64 exec, s[36:37]                                   // 000000006D34: BEFE0124
	v_mov_b32_e32 v6, v61                                      // 000000006D38: 7E0C033D
	s_mov_b64 s[60:61], 0                                      // 000000006D3C: BEBC0180
	v_readlane_b32 s82, v3, 10                                 // 000000006D40: D2890052 00011503
	s_and_b32 s82, s82, 0xffffff                               // 000000006D48: 8652FF52 00FFFFFF
	s_cmp_lt_u32 s82, s66                                      // 000000006D50: BF0A4252
	s_cselect_b32 s20, s36, s60                                // 000000006D54: 85143C24
	v_readlane_b32 s82, v3, 11                                 // 000000006D58: D2890052 00011703
	s_and_b32 s82, s82, 0xffffff                               // 000000006D60: 8652FF52 00FFFFFF
	s_cmp_lt_u32 s82, s66                                      // 000000006D68: BF0A4252
	s_cselect_b32 s21, s36, s60                                // 000000006D6C: 85153C24
	s_mov_b64 exec, s[20:21]                                   // 000000006D70: BEFE0114
	buffer_store_dword v77, v6, s[8:11], 0 offen               // 000000006D74: E0701000 80024D06
	s_mov_b64 exec, s[36:37]                                   // 000000006D7C: BEFE0124
	v_mov_b32_e32 v6, v62                                      // 000000006D80: 7E0C033E
	s_mov_b64 s[60:61], 0                                      // 000000006D84: BEBC0180
	v_readlane_b32 s82, v3, 12                                 // 000000006D88: D2890052 00011903
	s_and_b32 s82, s82, 0xffffff                               // 000000006D90: 8652FF52 00FFFFFF
	s_cmp_lt_u32 s82, s66                                      // 000000006D98: BF0A4252
	s_cselect_b32 s20, s36, s60                                // 000000006D9C: 85143C24
	v_readlane_b32 s82, v3, 13                                 // 000000006DA0: D2890052 00011B03
	s_and_b32 s82, s82, 0xffffff                               // 000000006DA8: 8652FF52 00FFFFFF
	s_cmp_lt_u32 s82, s66                                      // 000000006DB0: BF0A4252
	s_cselect_b32 s21, s36, s60                                // 000000006DB4: 85153C24
	s_mov_b64 exec, s[20:21]                                   // 000000006DB8: BEFE0114
	buffer_store_dword v78, v6, s[8:11], 0 offen               // 000000006DBC: E0701000 80024E06
	s_mov_b64 exec, s[36:37]                                   // 000000006DC4: BEFE0124
	v_mov_b32_e32 v6, v63                                      // 000000006DC8: 7E0C033F
	s_mov_b64 s[60:61], 0                                      // 000000006DCC: BEBC0180
	v_readlane_b32 s82, v3, 14                                 // 000000006DD0: D2890052 00011D03
	s_and_b32 s82, s82, 0xffffff                               // 000000006DD8: 8652FF52 00FFFFFF
	s_cmp_lt_u32 s82, s66                                      // 000000006DE0: BF0A4252
	s_cselect_b32 s20, s36, s60                                // 000000006DE4: 85143C24
	v_readlane_b32 s82, v3, 15                                 // 000000006DE8: D2890052 00011F03
	s_and_b32 s82, s82, 0xffffff                               // 000000006DF0: 8652FF52 00FFFFFF
	s_cmp_lt_u32 s82, s66                                      // 000000006DF8: BF0A4252
	s_cselect_b32 s21, s36, s60                                // 000000006DFC: 85153C24
	s_mov_b64 exec, s[20:21]                                   // 000000006E00: BEFE0114
	buffer_store_dword v79, v6, s[8:11], 0 offen               // 000000006E04: E0701000 80024F06
	s_mov_b64 exec, s[36:37]                                   // 000000006E0C: BEFE0124
	v_mov_b32_e32 v6, v64                                      // 000000006E10: 7E0C0340
	s_mov_b64 s[60:61], 0                                      // 000000006E14: BEBC0180
	v_readlane_b32 s82, v3, 16                                 // 000000006E18: D2890052 00012103
	s_and_b32 s82, s82, 0xffffff                               // 000000006E20: 8652FF52 00FFFFFF
	s_cmp_lt_u32 s82, s66                                      // 000000006E28: BF0A4252
	s_cselect_b32 s20, s36, s60                                // 000000006E2C: 85143C24
	v_readlane_b32 s82, v3, 17                                 // 000000006E30: D2890052 00012303
	s_and_b32 s82, s82, 0xffffff                               // 000000006E38: 8652FF52 00FFFFFF
	s_cmp_lt_u32 s82, s66                                      // 000000006E40: BF0A4252
	s_cselect_b32 s21, s36, s60                                // 000000006E44: 85153C24
	s_mov_b64 exec, s[20:21]                                   // 000000006E48: BEFE0114
	buffer_store_dword v80, v6, s[8:11], 0 offen               // 000000006E4C: E0701000 80025006
	s_mov_b64 exec, s[36:37]                                   // 000000006E54: BEFE0124
	v_mov_b32_e32 v6, v65                                      // 000000006E58: 7E0C0341
	s_mov_b64 s[60:61], 0                                      // 000000006E5C: BEBC0180
	v_readlane_b32 s82, v3, 18                                 // 000000006E60: D2890052 00012503
	s_and_b32 s82, s82, 0xffffff                               // 000000006E68: 8652FF52 00FFFFFF
	s_cmp_lt_u32 s82, s66                                      // 000000006E70: BF0A4252
	s_cselect_b32 s20, s36, s60                                // 000000006E74: 85143C24
	v_readlane_b32 s82, v3, 19                                 // 000000006E78: D2890052 00012703
	s_and_b32 s82, s82, 0xffffff                               // 000000006E80: 8652FF52 00FFFFFF
	s_cmp_lt_u32 s82, s66                                      // 000000006E88: BF0A4252
	s_cselect_b32 s21, s36, s60                                // 000000006E8C: 85153C24
	s_mov_b64 exec, s[20:21]                                   // 000000006E90: BEFE0114
	buffer_store_dword v81, v6, s[8:11], 0 offen               // 000000006E94: E0701000 80025106
	s_mov_b64 exec, s[36:37]                                   // 000000006E9C: BEFE0124
	v_mov_b32_e32 v6, v66                                      // 000000006EA0: 7E0C0342
	s_mov_b64 s[60:61], 0                                      // 000000006EA4: BEBC0180
	v_readlane_b32 s82, v3, 20                                 // 000000006EA8: D2890052 00012903
	s_and_b32 s82, s82, 0xffffff                               // 000000006EB0: 8652FF52 00FFFFFF
	s_cmp_lt_u32 s82, s66                                      // 000000006EB8: BF0A4252
	s_cselect_b32 s20, s36, s60                                // 000000006EBC: 85143C24
	v_readlane_b32 s82, v3, 21                                 // 000000006EC0: D2890052 00012B03
	s_and_b32 s82, s82, 0xffffff                               // 000000006EC8: 8652FF52 00FFFFFF
	s_cmp_lt_u32 s82, s66                                      // 000000006ED0: BF0A4252
	s_cselect_b32 s21, s36, s60                                // 000000006ED4: 85153C24
	s_mov_b64 exec, s[20:21]                                   // 000000006ED8: BEFE0114
	buffer_store_dword v82, v6, s[8:11], 0 offen               // 000000006EDC: E0701000 80025206
	s_mov_b64 exec, s[36:37]                                   // 000000006EE4: BEFE0124
	v_mov_b32_e32 v6, v67                                      // 000000006EE8: 7E0C0343
	s_mov_b64 s[60:61], 0                                      // 000000006EEC: BEBC0180
	v_readlane_b32 s82, v3, 22                                 // 000000006EF0: D2890052 00012D03
	s_and_b32 s82, s82, 0xffffff                               // 000000006EF8: 8652FF52 00FFFFFF
	s_cmp_lt_u32 s82, s66                                      // 000000006F00: BF0A4252
	s_cselect_b32 s20, s36, s60                                // 000000006F04: 85143C24
	v_readlane_b32 s82, v3, 23                                 // 000000006F08: D2890052 00012F03
	s_and_b32 s82, s82, 0xffffff                               // 000000006F10: 8652FF52 00FFFFFF
	s_cmp_lt_u32 s82, s66                                      // 000000006F18: BF0A4252
	s_cselect_b32 s21, s36, s60                                // 000000006F1C: 85153C24
	s_mov_b64 exec, s[20:21]                                   // 000000006F20: BEFE0114
	buffer_store_dword v83, v6, s[8:11], 0 offen               // 000000006F24: E0701000 80025306
	s_mov_b64 exec, s[36:37]                                   // 000000006F2C: BEFE0124
	v_mov_b32_e32 v6, v68                                      // 000000006F30: 7E0C0344
	s_mov_b64 s[60:61], 0                                      // 000000006F34: BEBC0180
	v_readlane_b32 s82, v3, 24                                 // 000000006F38: D2890052 00013103
	s_and_b32 s82, s82, 0xffffff                               // 000000006F40: 8652FF52 00FFFFFF
	s_cmp_lt_u32 s82, s66                                      // 000000006F48: BF0A4252
	s_cselect_b32 s20, s36, s60                                // 000000006F4C: 85143C24
	v_readlane_b32 s82, v3, 25                                 // 000000006F50: D2890052 00013303
	s_and_b32 s82, s82, 0xffffff                               // 000000006F58: 8652FF52 00FFFFFF
	s_cmp_lt_u32 s82, s66                                      // 000000006F60: BF0A4252
	s_cselect_b32 s21, s36, s60                                // 000000006F64: 85153C24
	s_mov_b64 exec, s[20:21]                                   // 000000006F68: BEFE0114
	buffer_store_dword v84, v6, s[8:11], 0 offen               // 000000006F6C: E0701000 80025406
	s_mov_b64 exec, s[36:37]                                   // 000000006F74: BEFE0124
	v_mov_b32_e32 v6, v69                                      // 000000006F78: 7E0C0345
	s_mov_b64 s[60:61], 0                                      // 000000006F7C: BEBC0180
	v_readlane_b32 s82, v3, 26                                 // 000000006F80: D2890052 00013503
	s_and_b32 s82, s82, 0xffffff                               // 000000006F88: 8652FF52 00FFFFFF
	s_cmp_lt_u32 s82, s66                                      // 000000006F90: BF0A4252
	s_cselect_b32 s20, s36, s60                                // 000000006F94: 85143C24
	v_readlane_b32 s82, v3, 27                                 // 000000006F98: D2890052 00013703
	s_and_b32 s82, s82, 0xffffff                               // 000000006FA0: 8652FF52 00FFFFFF
	s_cmp_lt_u32 s82, s66                                      // 000000006FA8: BF0A4252
	s_cselect_b32 s21, s36, s60                                // 000000006FAC: 85153C24
	s_mov_b64 exec, s[20:21]                                   // 000000006FB0: BEFE0114
	buffer_store_dword v85, v6, s[8:11], 0 offen               // 000000006FB4: E0701000 80025506
	s_mov_b64 exec, s[36:37]                                   // 000000006FBC: BEFE0124
	s_cmp_eq_u32 s7, 0                                         // 000000006FC0: BF068007
	s_cbranch_scc0 label_2E60                                  // 000000006FC4: BF841CEB
	s_waitcnt vmcnt(14)                                        // 000000006FC8: BF8C0F7E
	s_mov_b32 s8, s90                                          // 000000006FCC: BE88005A
	s_mov_b32 s9, s91                                          // 000000006FD0: BE89005B
	s_mul_i32 s60, s66, s71                                    // 000000006FD4: 923C4742
	s_add_u32 s8, s60, s8                                      // 000000006FD8: 8008083C
	s_addc_u32 s9, 0, s9                                       // 000000006FDC: 82090980
	s_lshr_b32 s71, s71, 5                                     // 000000006FE0: 8F478547
	s_mul_i32 s60, s66, s71                                    // 000000006FE4: 923C4742
	s_mov_b32 s10, s60                                         // 000000006FE8: BE8A003C
	s_lshr_b32 s61, s65, 5                                     // 000000006FEC: 8F3D8541
	s_mul_i32 s60, s2, 4                                       // 000000006FF0: 923C8402
	v_lshrrev_b32_e32 v4, 24, v28                              // 000000006FF4: 20083898
	v_mul_lo_u32 v4, s61, v4                                   // 000000006FF8: D2850004 0002083D
	v_and_b32_e32 v28, 0xffffff, v28                           // 000000007000: 263838FF 00FFFFFF
	v_mul_lo_u32 v28, s71, v28                                 // 000000007008: D285001C 00023847
	v_add_u32_e32 v28, v4, v28                                 // 000000007010: 68383904
	v_add_u32_e32 v28, s60, v28                                // 000000007014: 6838383C
	v_lshrrev_b32_e32 v4, 24, v29                              // 000000007018: 20083A98
	v_mul_lo_u32 v4, s61, v4                                   // 00000000701C: D2850004 0002083D
	v_and_b32_e32 v29, 0xffffff, v29                           // 000000007024: 263A3AFF 00FFFFFF
	v_mul_lo_u32 v29, s71, v29                                 // 00000000702C: D285001D 00023A47
	v_add_u32_e32 v29, v4, v29                                 // 000000007034: 683A3B04
	v_add_u32_e32 v29, s60, v29                                // 000000007038: 683A3A3C
	v_lshrrev_b32_e32 v4, 24, v30                              // 00000000703C: 20083C98
	v_mul_lo_u32 v4, s61, v4                                   // 000000007040: D2850004 0002083D
	v_and_b32_e32 v30, 0xffffff, v30                           // 000000007048: 263C3CFF 00FFFFFF
	v_mul_lo_u32 v30, s71, v30                                 // 000000007050: D285001E 00023C47
	v_add_u32_e32 v30, v4, v30                                 // 000000007058: 683C3D04
	v_add_u32_e32 v30, s60, v30                                // 00000000705C: 683C3C3C
	v_lshrrev_b32_e32 v4, 24, v31                              // 000000007060: 20083E98
	v_mul_lo_u32 v4, s61, v4                                   // 000000007064: D2850004 0002083D
	v_and_b32_e32 v31, 0xffffff, v31                           // 00000000706C: 263E3EFF 00FFFFFF
	v_mul_lo_u32 v31, s71, v31                                 // 000000007074: D285001F 00023E47
	v_add_u32_e32 v31, v4, v31                                 // 00000000707C: 683E3F04
	v_add_u32_e32 v31, s60, v31                                // 000000007080: 683E3E3C
	v_lshrrev_b32_e32 v4, 24, v32                              // 000000007084: 20084098
	v_mul_lo_u32 v4, s61, v4                                   // 000000007088: D2850004 0002083D
	v_and_b32_e32 v32, 0xffffff, v32                           // 000000007090: 264040FF 00FFFFFF
	v_mul_lo_u32 v32, s71, v32                                 // 000000007098: D2850020 00024047
	v_add_u32_e32 v32, v4, v32                                 // 0000000070A0: 68404104
	v_add_u32_e32 v32, s60, v32                                // 0000000070A4: 6840403C
	v_lshrrev_b32_e32 v4, 24, v33                              // 0000000070A8: 20084298
	v_mul_lo_u32 v4, s61, v4                                   // 0000000070AC: D2850004 0002083D
	v_and_b32_e32 v33, 0xffffff, v33                           // 0000000070B4: 264242FF 00FFFFFF
	v_mul_lo_u32 v33, s71, v33                                 // 0000000070BC: D2850021 00024247
	v_add_u32_e32 v33, v4, v33                                 // 0000000070C4: 68424304
	v_add_u32_e32 v33, s60, v33                                // 0000000070C8: 6842423C
	v_lshrrev_b32_e32 v4, 24, v34                              // 0000000070CC: 20084498
	v_mul_lo_u32 v4, s61, v4                                   // 0000000070D0: D2850004 0002083D
	v_and_b32_e32 v34, 0xffffff, v34                           // 0000000070D8: 264444FF 00FFFFFF
	v_mul_lo_u32 v34, s71, v34                                 // 0000000070E0: D2850022 00024447
	v_add_u32_e32 v34, v4, v34                                 // 0000000070E8: 68444504
	v_add_u32_e32 v34, s60, v34                                // 0000000070EC: 6844443C
	s_mov_b64 exec, 0xffff                                     // 0000000070F0: BEFE01FF 0000FFFF
	buffer_store_dword v128, v28, s[8:11], 0 offen             // 0000000070F8: E0701000 8002801C
	buffer_store_dword v129, v29, s[8:11], 0 offen             // 000000007100: E0701000 8002811D
	buffer_store_dword v130, v30, s[8:11], 0 offen             // 000000007108: E0701000 8002821E
	buffer_store_dword v131, v31, s[8:11], 0 offen             // 000000007110: E0701000 8002831F
	buffer_store_dword v132, v32, s[8:11], 0 offen             // 000000007118: E0701000 80028420
	buffer_store_dword v133, v33, s[8:11], 0 offen             // 000000007120: E0701000 80028521
	;; [unrolled: 1-line block ×3, first 2 shown]
	s_mov_b64 exec, s[36:37]                                   // 000000007130: BEFE0124
	s_branch label_2E60                                        // 000000007134: BF821C8F

0000000000007138 <label_11CE>:
	ds_write_b64 v20, v[72:73]                                 // 000000007138: D89A0000 00004814
	ds_write_b64 v20, v[76:77] offset:4352                     // 000000007140: D89A1100 00004C14
	ds_write_b64 v20, v[80:81] offset:8704                     // 000000007148: D89A2200 00005014
	ds_write_b64 v20, v[84:85] offset:13056                    // 000000007150: D89A3300 00005414
	ds_write_b64 v20, v[88:89] offset:17408                    // 000000007158: D89A4400 00005814
	ds_write_b64 v20, v[92:93] offset:21760                    // 000000007160: D89A5500 00005C14
	ds_write_b64 v20, v[96:97] offset:26112                    // 000000007168: D89A6600 00006014
	ds_write_b64 v20, v[100:101] offset:2176                   // 000000007170: D89A0880 00006414
	ds_write_b64 v20, v[104:105] offset:6528                   // 000000007178: D89A1980 00006814
	ds_write_b64 v20, v[108:109] offset:10880                  // 000000007180: D89A2A80 00006C14
	ds_write_b64 v20, v[112:113] offset:15232                  // 000000007188: D89A3B80 00007014
	ds_write_b64 v20, v[116:117] offset:19584                  // 000000007190: D89A4C80 00007414
	ds_write_b64 v20, v[120:121] offset:23936                  // 000000007198: D89A5D80 00007814
	ds_write_b64 v20, v[124:125] offset:28288                  // 0000000071A0: D89A6E80 00007C14
	v_lshrrev_b32_e32 v4, 5, v0                                // 0000000071A8: 20080085
	v_xor_b32_e32 v5, 1, v4                                    // 0000000071AC: 2A0A0881
	s_mul_i32 s60, s65, 1                                      // 0000000071B0: 923C8141
	s_cmp_eq_u32 s88, 0                                        // 0000000071B4: BF068058
	s_cselect_b32 s61, 1, 8                                    // 0000000071B8: 853D8881
	s_mul_i32 s60, s61, s60                                    // 0000000071BC: 923C3C3D
	v_readlane_b32 s82, v3, 0                                  // 0000000071C0: D2890052 00010103
	s_lshr_b32 s61, s82, 24                                    // 0000000071C8: 8F3D9852
	s_and_b32 s82, s82, 0xffffff                               // 0000000071CC: 8652FF52 00FFFFFF
	s_mul_i32 s82, s82, s71                                    // 0000000071D4: 92524752
	s_mul_i32 s61, s60, s61                                    // 0000000071D8: 923D3D3C
	s_add_u32 s82, s82, s61                                    // 0000000071DC: 80523D52
	v_mul_lo_u32 v6, v5, s82                                   // 0000000071E0: D2850006 0000A505
	v_readlane_b32 s82, v3, 1                                  // 0000000071E8: D2890052 00010303
	s_lshr_b32 s61, s82, 24                                    // 0000000071F0: 8F3D9852
	s_and_b32 s82, s82, 0xffffff                               // 0000000071F4: 8652FF52 00FFFFFF
	s_mul_i32 s82, s82, s71                                    // 0000000071FC: 92524752
	s_mul_i32 s61, s60, s61                                    // 000000007200: 923D3D3C
	s_add_u32 s82, s82, s61                                    // 000000007204: 80523D52
	v_mul_lo_u32 v7, v4, s82                                   // 000000007208: D2850007 0000A504
	v_add_u32_e32 v56, v6, v7                                  // 000000007210: 68700F06
	v_readlane_b32 s82, v3, 2                                  // 000000007214: D2890052 00010503
	s_lshr_b32 s61, s82, 24                                    // 00000000721C: 8F3D9852
	s_and_b32 s82, s82, 0xffffff                               // 000000007220: 8652FF52 00FFFFFF
	s_mul_i32 s82, s82, s71                                    // 000000007228: 92524752
	s_mul_i32 s61, s60, s61                                    // 00000000722C: 923D3D3C
	s_add_u32 s82, s82, s61                                    // 000000007230: 80523D52
	v_mul_lo_u32 v6, v5, s82                                   // 000000007234: D2850006 0000A505
	v_readlane_b32 s82, v3, 3                                  // 00000000723C: D2890052 00010703
	s_lshr_b32 s61, s82, 24                                    // 000000007244: 8F3D9852
	s_and_b32 s82, s82, 0xffffff                               // 000000007248: 8652FF52 00FFFFFF
	s_mul_i32 s82, s82, s71                                    // 000000007250: 92524752
	s_mul_i32 s61, s60, s61                                    // 000000007254: 923D3D3C
	s_add_u32 s82, s82, s61                                    // 000000007258: 80523D52
	v_mul_lo_u32 v7, v4, s82                                   // 00000000725C: D2850007 0000A504
	v_add_u32_e32 v57, v6, v7                                  // 000000007264: 68720F06
	v_readlane_b32 s82, v3, 4                                  // 000000007268: D2890052 00010903
	s_lshr_b32 s61, s82, 24                                    // 000000007270: 8F3D9852
	s_and_b32 s82, s82, 0xffffff                               // 000000007274: 8652FF52 00FFFFFF
	s_mul_i32 s82, s82, s71                                    // 00000000727C: 92524752
	s_mul_i32 s61, s60, s61                                    // 000000007280: 923D3D3C
	s_add_u32 s82, s82, s61                                    // 000000007284: 80523D52
	v_mul_lo_u32 v6, v5, s82                                   // 000000007288: D2850006 0000A505
	v_readlane_b32 s82, v3, 5                                  // 000000007290: D2890052 00010B03
	s_lshr_b32 s61, s82, 24                                    // 000000007298: 8F3D9852
	s_and_b32 s82, s82, 0xffffff                               // 00000000729C: 8652FF52 00FFFFFF
	s_mul_i32 s82, s82, s71                                    // 0000000072A4: 92524752
	s_mul_i32 s61, s60, s61                                    // 0000000072A8: 923D3D3C
	s_add_u32 s82, s82, s61                                    // 0000000072AC: 80523D52
	v_mul_lo_u32 v7, v4, s82                                   // 0000000072B0: D2850007 0000A504
	v_add_u32_e32 v58, v6, v7                                  // 0000000072B8: 68740F06
	v_readlane_b32 s82, v3, 6                                  // 0000000072BC: D2890052 00010D03
	s_lshr_b32 s61, s82, 24                                    // 0000000072C4: 8F3D9852
	s_and_b32 s82, s82, 0xffffff                               // 0000000072C8: 8652FF52 00FFFFFF
	s_mul_i32 s82, s82, s71                                    // 0000000072D0: 92524752
	s_mul_i32 s61, s60, s61                                    // 0000000072D4: 923D3D3C
	s_add_u32 s82, s82, s61                                    // 0000000072D8: 80523D52
	v_mul_lo_u32 v6, v5, s82                                   // 0000000072DC: D2850006 0000A505
	v_readlane_b32 s82, v3, 7                                  // 0000000072E4: D2890052 00010F03
	s_lshr_b32 s61, s82, 24                                    // 0000000072EC: 8F3D9852
	s_and_b32 s82, s82, 0xffffff                               // 0000000072F0: 8652FF52 00FFFFFF
	s_mul_i32 s82, s82, s71                                    // 0000000072F8: 92524752
	s_mul_i32 s61, s60, s61                                    // 0000000072FC: 923D3D3C
	s_add_u32 s82, s82, s61                                    // 000000007300: 80523D52
	v_mul_lo_u32 v7, v4, s82                                   // 000000007304: D2850007 0000A504
	v_add_u32_e32 v59, v6, v7                                  // 00000000730C: 68760F06
	v_readlane_b32 s82, v3, 8                                  // 000000007310: D2890052 00011103
	s_lshr_b32 s61, s82, 24                                    // 000000007318: 8F3D9852
	s_and_b32 s82, s82, 0xffffff                               // 00000000731C: 8652FF52 00FFFFFF
	s_mul_i32 s82, s82, s71                                    // 000000007324: 92524752
	s_mul_i32 s61, s60, s61                                    // 000000007328: 923D3D3C
	s_add_u32 s82, s82, s61                                    // 00000000732C: 80523D52
	v_mul_lo_u32 v6, v5, s82                                   // 000000007330: D2850006 0000A505
	v_readlane_b32 s82, v3, 9                                  // 000000007338: D2890052 00011303
	s_lshr_b32 s61, s82, 24                                    // 000000007340: 8F3D9852
	s_and_b32 s82, s82, 0xffffff                               // 000000007344: 8652FF52 00FFFFFF
	s_mul_i32 s82, s82, s71                                    // 00000000734C: 92524752
	s_mul_i32 s61, s60, s61                                    // 000000007350: 923D3D3C
	s_add_u32 s82, s82, s61                                    // 000000007354: 80523D52
	v_mul_lo_u32 v7, v4, s82                                   // 000000007358: D2850007 0000A504
	v_add_u32_e32 v60, v6, v7                                  // 000000007360: 68780F06
	v_readlane_b32 s82, v3, 10                                 // 000000007364: D2890052 00011503
	s_lshr_b32 s61, s82, 24                                    // 00000000736C: 8F3D9852
	s_and_b32 s82, s82, 0xffffff                               // 000000007370: 8652FF52 00FFFFFF
	s_mul_i32 s82, s82, s71                                    // 000000007378: 92524752
	s_mul_i32 s61, s60, s61                                    // 00000000737C: 923D3D3C
	s_add_u32 s82, s82, s61                                    // 000000007380: 80523D52
	v_mul_lo_u32 v6, v5, s82                                   // 000000007384: D2850006 0000A505
	v_readlane_b32 s82, v3, 11                                 // 00000000738C: D2890052 00011703
	s_lshr_b32 s61, s82, 24                                    // 000000007394: 8F3D9852
	s_and_b32 s82, s82, 0xffffff                               // 000000007398: 8652FF52 00FFFFFF
	s_mul_i32 s82, s82, s71                                    // 0000000073A0: 92524752
	s_mul_i32 s61, s60, s61                                    // 0000000073A4: 923D3D3C
	s_add_u32 s82, s82, s61                                    // 0000000073A8: 80523D52
	v_mul_lo_u32 v7, v4, s82                                   // 0000000073AC: D2850007 0000A504
	v_add_u32_e32 v61, v6, v7                                  // 0000000073B4: 687A0F06
	v_readlane_b32 s82, v3, 12                                 // 0000000073B8: D2890052 00011903
	s_lshr_b32 s61, s82, 24                                    // 0000000073C0: 8F3D9852
	s_and_b32 s82, s82, 0xffffff                               // 0000000073C4: 8652FF52 00FFFFFF
	s_mul_i32 s82, s82, s71                                    // 0000000073CC: 92524752
	s_mul_i32 s61, s60, s61                                    // 0000000073D0: 923D3D3C
	s_add_u32 s82, s82, s61                                    // 0000000073D4: 80523D52
	v_mul_lo_u32 v6, v5, s82                                   // 0000000073D8: D2850006 0000A505
	v_readlane_b32 s82, v3, 13                                 // 0000000073E0: D2890052 00011B03
	s_lshr_b32 s61, s82, 24                                    // 0000000073E8: 8F3D9852
	s_and_b32 s82, s82, 0xffffff                               // 0000000073EC: 8652FF52 00FFFFFF
	s_mul_i32 s82, s82, s71                                    // 0000000073F4: 92524752
	s_mul_i32 s61, s60, s61                                    // 0000000073F8: 923D3D3C
	s_add_u32 s82, s82, s61                                    // 0000000073FC: 80523D52
	v_mul_lo_u32 v7, v4, s82                                   // 000000007400: D2850007 0000A504
	v_add_u32_e32 v62, v6, v7                                  // 000000007408: 687C0F06
	v_readlane_b32 s82, v3, 14                                 // 00000000740C: D2890052 00011D03
	s_lshr_b32 s61, s82, 24                                    // 000000007414: 8F3D9852
	s_and_b32 s82, s82, 0xffffff                               // 000000007418: 8652FF52 00FFFFFF
	s_mul_i32 s82, s82, s71                                    // 000000007420: 92524752
	s_mul_i32 s61, s60, s61                                    // 000000007424: 923D3D3C
	s_add_u32 s82, s82, s61                                    // 000000007428: 80523D52
	v_mul_lo_u32 v6, v5, s82                                   // 00000000742C: D2850006 0000A505
	v_readlane_b32 s82, v3, 15                                 // 000000007434: D2890052 00011F03
	s_lshr_b32 s61, s82, 24                                    // 00000000743C: 8F3D9852
	s_and_b32 s82, s82, 0xffffff                               // 000000007440: 8652FF52 00FFFFFF
	s_mul_i32 s82, s82, s71                                    // 000000007448: 92524752
	s_mul_i32 s61, s60, s61                                    // 00000000744C: 923D3D3C
	s_add_u32 s82, s82, s61                                    // 000000007450: 80523D52
	v_mul_lo_u32 v7, v4, s82                                   // 000000007454: D2850007 0000A504
	v_add_u32_e32 v63, v6, v7                                  // 00000000745C: 687E0F06
	v_readlane_b32 s82, v3, 16                                 // 000000007460: D2890052 00012103
	s_lshr_b32 s61, s82, 24                                    // 000000007468: 8F3D9852
	s_and_b32 s82, s82, 0xffffff                               // 00000000746C: 8652FF52 00FFFFFF
	s_mul_i32 s82, s82, s71                                    // 000000007474: 92524752
	s_mul_i32 s61, s60, s61                                    // 000000007478: 923D3D3C
	s_add_u32 s82, s82, s61                                    // 00000000747C: 80523D52
	v_mul_lo_u32 v6, v5, s82                                   // 000000007480: D2850006 0000A505
	v_readlane_b32 s82, v3, 17                                 // 000000007488: D2890052 00012303
	s_lshr_b32 s61, s82, 24                                    // 000000007490: 8F3D9852
	s_and_b32 s82, s82, 0xffffff                               // 000000007494: 8652FF52 00FFFFFF
	s_mul_i32 s82, s82, s71                                    // 00000000749C: 92524752
	s_mul_i32 s61, s60, s61                                    // 0000000074A0: 923D3D3C
	s_add_u32 s82, s82, s61                                    // 0000000074A4: 80523D52
	v_mul_lo_u32 v7, v4, s82                                   // 0000000074A8: D2850007 0000A504
	v_add_u32_e32 v64, v6, v7                                  // 0000000074B0: 68800F06
	v_readlane_b32 s82, v3, 18                                 // 0000000074B4: D2890052 00012503
	s_lshr_b32 s61, s82, 24                                    // 0000000074BC: 8F3D9852
	s_and_b32 s82, s82, 0xffffff                               // 0000000074C0: 8652FF52 00FFFFFF
	s_mul_i32 s82, s82, s71                                    // 0000000074C8: 92524752
	s_mul_i32 s61, s60, s61                                    // 0000000074CC: 923D3D3C
	s_add_u32 s82, s82, s61                                    // 0000000074D0: 80523D52
	v_mul_lo_u32 v6, v5, s82                                   // 0000000074D4: D2850006 0000A505
	v_readlane_b32 s82, v3, 19                                 // 0000000074DC: D2890052 00012703
	s_lshr_b32 s61, s82, 24                                    // 0000000074E4: 8F3D9852
	s_and_b32 s82, s82, 0xffffff                               // 0000000074E8: 8652FF52 00FFFFFF
	s_mul_i32 s82, s82, s71                                    // 0000000074F0: 92524752
	s_mul_i32 s61, s60, s61                                    // 0000000074F4: 923D3D3C
	s_add_u32 s82, s82, s61                                    // 0000000074F8: 80523D52
	v_mul_lo_u32 v7, v4, s82                                   // 0000000074FC: D2850007 0000A504
	v_add_u32_e32 v65, v6, v7                                  // 000000007504: 68820F06
	v_readlane_b32 s82, v3, 20                                 // 000000007508: D2890052 00012903
	s_lshr_b32 s61, s82, 24                                    // 000000007510: 8F3D9852
	s_and_b32 s82, s82, 0xffffff                               // 000000007514: 8652FF52 00FFFFFF
	s_mul_i32 s82, s82, s71                                    // 00000000751C: 92524752
	s_mul_i32 s61, s60, s61                                    // 000000007520: 923D3D3C
	s_add_u32 s82, s82, s61                                    // 000000007524: 80523D52
	v_mul_lo_u32 v6, v5, s82                                   // 000000007528: D2850006 0000A505
	v_readlane_b32 s82, v3, 21                                 // 000000007530: D2890052 00012B03
	s_lshr_b32 s61, s82, 24                                    // 000000007538: 8F3D9852
	s_and_b32 s82, s82, 0xffffff                               // 00000000753C: 8652FF52 00FFFFFF
	s_mul_i32 s82, s82, s71                                    // 000000007544: 92524752
	s_mul_i32 s61, s60, s61                                    // 000000007548: 923D3D3C
	s_add_u32 s82, s82, s61                                    // 00000000754C: 80523D52
	v_mul_lo_u32 v7, v4, s82                                   // 000000007550: D2850007 0000A504
	v_add_u32_e32 v66, v6, v7                                  // 000000007558: 68840F06
	v_readlane_b32 s82, v3, 22                                 // 00000000755C: D2890052 00012D03
	s_lshr_b32 s61, s82, 24                                    // 000000007564: 8F3D9852
	s_and_b32 s82, s82, 0xffffff                               // 000000007568: 8652FF52 00FFFFFF
	s_mul_i32 s82, s82, s71                                    // 000000007570: 92524752
	s_mul_i32 s61, s60, s61                                    // 000000007574: 923D3D3C
	s_add_u32 s82, s82, s61                                    // 000000007578: 80523D52
	v_mul_lo_u32 v6, v5, s82                                   // 00000000757C: D2850006 0000A505
	v_readlane_b32 s82, v3, 23                                 // 000000007584: D2890052 00012F03
	s_lshr_b32 s61, s82, 24                                    // 00000000758C: 8F3D9852
	s_and_b32 s82, s82, 0xffffff                               // 000000007590: 8652FF52 00FFFFFF
	s_mul_i32 s82, s82, s71                                    // 000000007598: 92524752
	s_mul_i32 s61, s60, s61                                    // 00000000759C: 923D3D3C
	s_add_u32 s82, s82, s61                                    // 0000000075A0: 80523D52
	v_mul_lo_u32 v7, v4, s82                                   // 0000000075A4: D2850007 0000A504
	v_add_u32_e32 v67, v6, v7                                  // 0000000075AC: 68860F06
	v_readlane_b32 s82, v3, 24                                 // 0000000075B0: D2890052 00013103
	s_lshr_b32 s61, s82, 24                                    // 0000000075B8: 8F3D9852
	s_and_b32 s82, s82, 0xffffff                               // 0000000075BC: 8652FF52 00FFFFFF
	s_mul_i32 s82, s82, s71                                    // 0000000075C4: 92524752
	s_mul_i32 s61, s60, s61                                    // 0000000075C8: 923D3D3C
	s_add_u32 s82, s82, s61                                    // 0000000075CC: 80523D52
	v_mul_lo_u32 v6, v5, s82                                   // 0000000075D0: D2850006 0000A505
	v_readlane_b32 s82, v3, 25                                 // 0000000075D8: D2890052 00013303
	s_lshr_b32 s61, s82, 24                                    // 0000000075E0: 8F3D9852
	s_and_b32 s82, s82, 0xffffff                               // 0000000075E4: 8652FF52 00FFFFFF
	s_mul_i32 s82, s82, s71                                    // 0000000075EC: 92524752
	s_mul_i32 s61, s60, s61                                    // 0000000075F0: 923D3D3C
	s_add_u32 s82, s82, s61                                    // 0000000075F4: 80523D52
	v_mul_lo_u32 v7, v4, s82                                   // 0000000075F8: D2850007 0000A504
	v_add_u32_e32 v68, v6, v7                                  // 000000007600: 68880F06
	v_readlane_b32 s82, v3, 26                                 // 000000007604: D2890052 00013503
	s_lshr_b32 s61, s82, 24                                    // 00000000760C: 8F3D9852
	s_and_b32 s82, s82, 0xffffff                               // 000000007610: 8652FF52 00FFFFFF
	s_mul_i32 s82, s82, s71                                    // 000000007618: 92524752
	s_mul_i32 s61, s60, s61                                    // 00000000761C: 923D3D3C
	s_add_u32 s82, s82, s61                                    // 000000007620: 80523D52
	v_mul_lo_u32 v6, v5, s82                                   // 000000007624: D2850006 0000A505
	v_readlane_b32 s82, v3, 27                                 // 00000000762C: D2890052 00013703
	s_lshr_b32 s61, s82, 24                                    // 000000007634: 8F3D9852
	s_and_b32 s82, s82, 0xffffff                               // 000000007638: 8652FF52 00FFFFFF
	s_mul_i32 s82, s82, s71                                    // 000000007640: 92524752
	s_mul_i32 s61, s60, s61                                    // 000000007644: 923D3D3C
	s_add_u32 s82, s82, s61                                    // 000000007648: 80523D52
	v_mul_lo_u32 v7, v4, s82                                   // 00000000764C: D2850007 0000A504
	v_add_u32_e32 v69, v6, v7                                  // 000000007654: 688A0F06
	v_and_b32_e32 v4, 31, v0                                   // 000000007658: 2608009F
	v_lshrrev_b32_e32 v4, 1, v4                                // 00000000765C: 20080881
	s_cmp_eq_u32 s88, 0                                        // 000000007660: BF068058
	s_cselect_b32 s61, 2, 4                                    // 000000007664: 853D8482
	v_mul_lo_u32 v4, v4, s61                                   // 000000007668: D2850004 00007B04
	v_and_b32_e64 v5, v0, 1                                    // 000000007670: D1130005 00010300
	v_add_u32_e32 v4, v4, v5                                   // 000000007678: 68080B04
	v_lshlrev_b32_e32 v4, 2, v4                                // 00000000767C: 24080882
	v_add_u32_e32 v56, v56, v4                                 // 000000007680: 68700938
	v_add_u32_e32 v57, v57, v4                                 // 000000007684: 68720939
	v_add_u32_e32 v58, v58, v4                                 // 000000007688: 6874093A
	v_add_u32_e32 v59, v59, v4                                 // 00000000768C: 6876093B
	v_add_u32_e32 v60, v60, v4                                 // 000000007690: 6878093C
	v_add_u32_e32 v61, v61, v4                                 // 000000007694: 687A093D
	v_add_u32_e32 v62, v62, v4                                 // 000000007698: 687C093E
	v_add_u32_e32 v63, v63, v4                                 // 00000000769C: 687E093F
	v_add_u32_e32 v64, v64, v4                                 // 0000000076A0: 68800940
	v_add_u32_e32 v65, v65, v4                                 // 0000000076A4: 68820941
	v_add_u32_e32 v66, v66, v4                                 // 0000000076A8: 68840942
	v_add_u32_e32 v67, v67, v4                                 // 0000000076AC: 68860943
	v_add_u32_e32 v68, v68, v4                                 // 0000000076B0: 68880944
	v_add_u32_e32 v69, v69, v4                                 // 0000000076B4: 688A0945
	s_waitcnt lgkmcnt(0)                                       // 0000000076B8: BF8CC07F
	s_barrier                                                  // 0000000076BC: BF8A0000
	ds_read_b32 v72, v21                                       // 0000000076C0: D86C0000 48000015
	ds_read_b32 v73, v21 offset:64                             // 0000000076C8: D86C0040 49000015
	ds_read_b32 v76, v21 offset:2176                           // 0000000076D0: D86C0880 4C000015
	ds_read_b32 v77, v21 offset:2240                           // 0000000076D8: D86C08C0 4D000015
	ds_read_b32 v80, v21 offset:4352                           // 0000000076E0: D86C1100 50000015
	ds_read_b32 v81, v21 offset:4416                           // 0000000076E8: D86C1140 51000015
	ds_read_b32 v84, v21 offset:6528                           // 0000000076F0: D86C1980 54000015
	ds_read_b32 v85, v21 offset:6592                           // 0000000076F8: D86C19C0 55000015
	ds_read_b32 v88, v21 offset:8704                           // 000000007700: D86C2200 58000015
	ds_read_b32 v89, v21 offset:8768                           // 000000007708: D86C2240 59000015
	ds_read_b32 v92, v21 offset:10880                          // 000000007710: D86C2A80 5C000015
	ds_read_b32 v93, v21 offset:10944                          // 000000007718: D86C2AC0 5D000015
	ds_read_b32 v96, v21 offset:13056                          // 000000007720: D86C3300 60000015
	ds_read_b32 v97, v21 offset:13120                          // 000000007728: D86C3340 61000015
	ds_read_b32 v100, v21 offset:15232                         // 000000007730: D86C3B80 64000015
	ds_read_b32 v101, v21 offset:15296                         // 000000007738: D86C3BC0 65000015
	ds_read_b32 v104, v21 offset:17408                         // 000000007740: D86C4400 68000015
	ds_read_b32 v105, v21 offset:17472                         // 000000007748: D86C4440 69000015
	ds_read_b32 v108, v21 offset:19584                         // 000000007750: D86C4C80 6C000015
	ds_read_b32 v109, v21 offset:19648                         // 000000007758: D86C4CC0 6D000015
	ds_read_b32 v112, v21 offset:21760                         // 000000007760: D86C5500 70000015
	ds_read_b32 v113, v21 offset:21824                         // 000000007768: D86C5540 71000015
	ds_read_b32 v116, v21 offset:23936                         // 000000007770: D86C5D80 74000015
	ds_read_b32 v117, v21 offset:24000                         // 000000007778: D86C5DC0 75000015
	ds_read_b32 v120, v21 offset:26112                         // 000000007780: D86C6600 78000015
	ds_read_b32 v121, v21 offset:26176                         // 000000007788: D86C6640 79000015
	ds_read_b32 v124, v21 offset:28288                         // 000000007790: D86C6E80 7C000015
	ds_read_b32 v125, v21 offset:28352                         // 000000007798: D86C6EC0 7D000015
	s_waitcnt lgkmcnt(0)                                       // 0000000077A0: BF8CC07F
	s_mov_b32 s36, -1                                          // 0000000077A4: BEA400C1
	s_mov_b32 s37, -1                                          // 0000000077A8: BEA500C1
	v_mov_b32_e32 v7, 0                                        // 0000000077AC: 7E0E0280
	s_mov_b64 exec, s[36:37]                                   // 0000000077B0: BEFE0124
	v_mov_b32_e32 v6, v56                                      // 0000000077B4: 7E0C0338
	s_mov_b64 s[60:61], 0                                      // 0000000077B8: BEBC0180
	v_readlane_b32 s82, v3, 0                                  // 0000000077BC: D2890052 00010103
	s_and_b32 s82, s82, 0xffffff                               // 0000000077C4: 8652FF52 00FFFFFF
	s_cmp_lt_u32 s82, s66                                      // 0000000077CC: BF0A4252
	s_cselect_b32 s20, s36, s60                                // 0000000077D0: 85143C24
	v_readlane_b32 s82, v3, 1                                  // 0000000077D4: D2890052 00010303
	s_and_b32 s82, s82, 0xffffff                               // 0000000077DC: 8652FF52 00FFFFFF
	s_cmp_lt_u32 s82, s66                                      // 0000000077E4: BF0A4252
	s_cselect_b32 s21, s36, s60                                // 0000000077E8: 85153C24
	s_mov_b64 exec, s[20:21]                                   // 0000000077EC: BEFE0114
	global_atomic_add_f32 v6, v72, s[8:9]                      // 0000000077F0: DD348000 00084806
	global_atomic_add_f32 v6, v76, s[8:9] offset:256           // 0000000077F8: DD348100 00084C06
	s_mov_b64 exec, s[36:37]                                   // 000000007800: BEFE0124
	v_mov_b32_e32 v6, v57                                      // 000000007804: 7E0C0339
	s_mov_b64 s[60:61], 0                                      // 000000007808: BEBC0180
	v_readlane_b32 s82, v3, 2                                  // 00000000780C: D2890052 00010503
	s_and_b32 s82, s82, 0xffffff                               // 000000007814: 8652FF52 00FFFFFF
	s_cmp_lt_u32 s82, s66                                      // 00000000781C: BF0A4252
	s_cselect_b32 s20, s36, s60                                // 000000007820: 85143C24
	v_readlane_b32 s82, v3, 3                                  // 000000007824: D2890052 00010703
	s_and_b32 s82, s82, 0xffffff                               // 00000000782C: 8652FF52 00FFFFFF
	s_cmp_lt_u32 s82, s66                                      // 000000007834: BF0A4252
	s_cselect_b32 s21, s36, s60                                // 000000007838: 85153C24
	s_mov_b64 exec, s[20:21]                                   // 00000000783C: BEFE0114
	global_atomic_add_f32 v6, v73, s[8:9]                      // 000000007840: DD348000 00084906
	global_atomic_add_f32 v6, v77, s[8:9] offset:256           // 000000007848: DD348100 00084D06
	s_mov_b64 exec, s[36:37]                                   // 000000007850: BEFE0124
	v_mov_b32_e32 v6, v58                                      // 000000007854: 7E0C033A
	s_mov_b64 s[60:61], 0                                      // 000000007858: BEBC0180
	v_readlane_b32 s82, v3, 4                                  // 00000000785C: D2890052 00010903
	s_and_b32 s82, s82, 0xffffff                               // 000000007864: 8652FF52 00FFFFFF
	s_cmp_lt_u32 s82, s66                                      // 00000000786C: BF0A4252
	s_cselect_b32 s20, s36, s60                                // 000000007870: 85143C24
	v_readlane_b32 s82, v3, 5                                  // 000000007874: D2890052 00010B03
	s_and_b32 s82, s82, 0xffffff                               // 00000000787C: 8652FF52 00FFFFFF
	s_cmp_lt_u32 s82, s66                                      // 000000007884: BF0A4252
	s_cselect_b32 s21, s36, s60                                // 000000007888: 85153C24
	s_mov_b64 exec, s[20:21]                                   // 00000000788C: BEFE0114
	global_atomic_add_f32 v6, v80, s[8:9]                      // 000000007890: DD348000 00085006
	global_atomic_add_f32 v6, v84, s[8:9] offset:256           // 000000007898: DD348100 00085406
	s_mov_b64 exec, s[36:37]                                   // 0000000078A0: BEFE0124
	v_mov_b32_e32 v6, v59                                      // 0000000078A4: 7E0C033B
	s_mov_b64 s[60:61], 0                                      // 0000000078A8: BEBC0180
	v_readlane_b32 s82, v3, 6                                  // 0000000078AC: D2890052 00010D03
	s_and_b32 s82, s82, 0xffffff                               // 0000000078B4: 8652FF52 00FFFFFF
	s_cmp_lt_u32 s82, s66                                      // 0000000078BC: BF0A4252
	s_cselect_b32 s20, s36, s60                                // 0000000078C0: 85143C24
	v_readlane_b32 s82, v3, 7                                  // 0000000078C4: D2890052 00010F03
	s_and_b32 s82, s82, 0xffffff                               // 0000000078CC: 8652FF52 00FFFFFF
	s_cmp_lt_u32 s82, s66                                      // 0000000078D4: BF0A4252
	s_cselect_b32 s21, s36, s60                                // 0000000078D8: 85153C24
	s_mov_b64 exec, s[20:21]                                   // 0000000078DC: BEFE0114
	global_atomic_add_f32 v6, v81, s[8:9]                      // 0000000078E0: DD348000 00085106
	global_atomic_add_f32 v6, v85, s[8:9] offset:256           // 0000000078E8: DD348100 00085506
	s_mov_b64 exec, s[36:37]                                   // 0000000078F0: BEFE0124
	v_mov_b32_e32 v6, v60                                      // 0000000078F4: 7E0C033C
	s_mov_b64 s[60:61], 0                                      // 0000000078F8: BEBC0180
	v_readlane_b32 s82, v3, 8                                  // 0000000078FC: D2890052 00011103
	s_and_b32 s82, s82, 0xffffff                               // 000000007904: 8652FF52 00FFFFFF
	s_cmp_lt_u32 s82, s66                                      // 00000000790C: BF0A4252
	s_cselect_b32 s20, s36, s60                                // 000000007910: 85143C24
	v_readlane_b32 s82, v3, 9                                  // 000000007914: D2890052 00011303
	s_and_b32 s82, s82, 0xffffff                               // 00000000791C: 8652FF52 00FFFFFF
	s_cmp_lt_u32 s82, s66                                      // 000000007924: BF0A4252
	s_cselect_b32 s21, s36, s60                                // 000000007928: 85153C24
	s_mov_b64 exec, s[20:21]                                   // 00000000792C: BEFE0114
	global_atomic_add_f32 v6, v88, s[8:9]                      // 000000007930: DD348000 00085806
	global_atomic_add_f32 v6, v92, s[8:9] offset:256           // 000000007938: DD348100 00085C06
	s_mov_b64 exec, s[36:37]                                   // 000000007940: BEFE0124
	v_mov_b32_e32 v6, v61                                      // 000000007944: 7E0C033D
	s_mov_b64 s[60:61], 0                                      // 000000007948: BEBC0180
	v_readlane_b32 s82, v3, 10                                 // 00000000794C: D2890052 00011503
	s_and_b32 s82, s82, 0xffffff                               // 000000007954: 8652FF52 00FFFFFF
	s_cmp_lt_u32 s82, s66                                      // 00000000795C: BF0A4252
	s_cselect_b32 s20, s36, s60                                // 000000007960: 85143C24
	v_readlane_b32 s82, v3, 11                                 // 000000007964: D2890052 00011703
	s_and_b32 s82, s82, 0xffffff                               // 00000000796C: 8652FF52 00FFFFFF
	s_cmp_lt_u32 s82, s66                                      // 000000007974: BF0A4252
	s_cselect_b32 s21, s36, s60                                // 000000007978: 85153C24
	s_mov_b64 exec, s[20:21]                                   // 00000000797C: BEFE0114
	global_atomic_add_f32 v6, v89, s[8:9]                      // 000000007980: DD348000 00085906
	global_atomic_add_f32 v6, v93, s[8:9] offset:256           // 000000007988: DD348100 00085D06
	s_mov_b64 exec, s[36:37]                                   // 000000007990: BEFE0124
	v_mov_b32_e32 v6, v62                                      // 000000007994: 7E0C033E
	s_mov_b64 s[60:61], 0                                      // 000000007998: BEBC0180
	v_readlane_b32 s82, v3, 12                                 // 00000000799C: D2890052 00011903
	s_and_b32 s82, s82, 0xffffff                               // 0000000079A4: 8652FF52 00FFFFFF
	s_cmp_lt_u32 s82, s66                                      // 0000000079AC: BF0A4252
	s_cselect_b32 s20, s36, s60                                // 0000000079B0: 85143C24
	v_readlane_b32 s82, v3, 13                                 // 0000000079B4: D2890052 00011B03
	s_and_b32 s82, s82, 0xffffff                               // 0000000079BC: 8652FF52 00FFFFFF
	s_cmp_lt_u32 s82, s66                                      // 0000000079C4: BF0A4252
	s_cselect_b32 s21, s36, s60                                // 0000000079C8: 85153C24
	s_mov_b64 exec, s[20:21]                                   // 0000000079CC: BEFE0114
	global_atomic_add_f32 v6, v96, s[8:9]                      // 0000000079D0: DD348000 00086006
	global_atomic_add_f32 v6, v100, s[8:9] offset:256          // 0000000079D8: DD348100 00086406
	s_mov_b64 exec, s[36:37]                                   // 0000000079E0: BEFE0124
	v_mov_b32_e32 v6, v63                                      // 0000000079E4: 7E0C033F
	s_mov_b64 s[60:61], 0                                      // 0000000079E8: BEBC0180
	v_readlane_b32 s82, v3, 14                                 // 0000000079EC: D2890052 00011D03
	s_and_b32 s82, s82, 0xffffff                               // 0000000079F4: 8652FF52 00FFFFFF
	s_cmp_lt_u32 s82, s66                                      // 0000000079FC: BF0A4252
	s_cselect_b32 s20, s36, s60                                // 000000007A00: 85143C24
	v_readlane_b32 s82, v3, 15                                 // 000000007A04: D2890052 00011F03
	s_and_b32 s82, s82, 0xffffff                               // 000000007A0C: 8652FF52 00FFFFFF
	s_cmp_lt_u32 s82, s66                                      // 000000007A14: BF0A4252
	s_cselect_b32 s21, s36, s60                                // 000000007A18: 85153C24
	s_mov_b64 exec, s[20:21]                                   // 000000007A1C: BEFE0114
	global_atomic_add_f32 v6, v97, s[8:9]                      // 000000007A20: DD348000 00086106
	global_atomic_add_f32 v6, v101, s[8:9] offset:256          // 000000007A28: DD348100 00086506
	s_mov_b64 exec, s[36:37]                                   // 000000007A30: BEFE0124
	v_mov_b32_e32 v6, v64                                      // 000000007A34: 7E0C0340
	s_mov_b64 s[60:61], 0                                      // 000000007A38: BEBC0180
	v_readlane_b32 s82, v3, 16                                 // 000000007A3C: D2890052 00012103
	s_and_b32 s82, s82, 0xffffff                               // 000000007A44: 8652FF52 00FFFFFF
	s_cmp_lt_u32 s82, s66                                      // 000000007A4C: BF0A4252
	s_cselect_b32 s20, s36, s60                                // 000000007A50: 85143C24
	v_readlane_b32 s82, v3, 17                                 // 000000007A54: D2890052 00012303
	s_and_b32 s82, s82, 0xffffff                               // 000000007A5C: 8652FF52 00FFFFFF
	s_cmp_lt_u32 s82, s66                                      // 000000007A64: BF0A4252
	s_cselect_b32 s21, s36, s60                                // 000000007A68: 85153C24
	s_mov_b64 exec, s[20:21]                                   // 000000007A6C: BEFE0114
	global_atomic_add_f32 v6, v104, s[8:9]                     // 000000007A70: DD348000 00086806
	global_atomic_add_f32 v6, v108, s[8:9] offset:256          // 000000007A78: DD348100 00086C06
	s_mov_b64 exec, s[36:37]                                   // 000000007A80: BEFE0124
	v_mov_b32_e32 v6, v65                                      // 000000007A84: 7E0C0341
	s_mov_b64 s[60:61], 0                                      // 000000007A88: BEBC0180
	v_readlane_b32 s82, v3, 18                                 // 000000007A8C: D2890052 00012503
	s_and_b32 s82, s82, 0xffffff                               // 000000007A94: 8652FF52 00FFFFFF
	s_cmp_lt_u32 s82, s66                                      // 000000007A9C: BF0A4252
	s_cselect_b32 s20, s36, s60                                // 000000007AA0: 85143C24
	v_readlane_b32 s82, v3, 19                                 // 000000007AA4: D2890052 00012703
	s_and_b32 s82, s82, 0xffffff                               // 000000007AAC: 8652FF52 00FFFFFF
	s_cmp_lt_u32 s82, s66                                      // 000000007AB4: BF0A4252
	s_cselect_b32 s21, s36, s60                                // 000000007AB8: 85153C24
	s_mov_b64 exec, s[20:21]                                   // 000000007ABC: BEFE0114
	global_atomic_add_f32 v6, v105, s[8:9]                     // 000000007AC0: DD348000 00086906
	global_atomic_add_f32 v6, v109, s[8:9] offset:256          // 000000007AC8: DD348100 00086D06
	s_mov_b64 exec, s[36:37]                                   // 000000007AD0: BEFE0124
	v_mov_b32_e32 v6, v66                                      // 000000007AD4: 7E0C0342
	s_mov_b64 s[60:61], 0                                      // 000000007AD8: BEBC0180
	v_readlane_b32 s82, v3, 20                                 // 000000007ADC: D2890052 00012903
	s_and_b32 s82, s82, 0xffffff                               // 000000007AE4: 8652FF52 00FFFFFF
	s_cmp_lt_u32 s82, s66                                      // 000000007AEC: BF0A4252
	s_cselect_b32 s20, s36, s60                                // 000000007AF0: 85143C24
	v_readlane_b32 s82, v3, 21                                 // 000000007AF4: D2890052 00012B03
	s_and_b32 s82, s82, 0xffffff                               // 000000007AFC: 8652FF52 00FFFFFF
	s_cmp_lt_u32 s82, s66                                      // 000000007B04: BF0A4252
	s_cselect_b32 s21, s36, s60                                // 000000007B08: 85153C24
	s_mov_b64 exec, s[20:21]                                   // 000000007B0C: BEFE0114
	global_atomic_add_f32 v6, v112, s[8:9]                     // 000000007B10: DD348000 00087006
	global_atomic_add_f32 v6, v116, s[8:9] offset:256          // 000000007B18: DD348100 00087406
	s_mov_b64 exec, s[36:37]                                   // 000000007B20: BEFE0124
	v_mov_b32_e32 v6, v67                                      // 000000007B24: 7E0C0343
	s_mov_b64 s[60:61], 0                                      // 000000007B28: BEBC0180
	v_readlane_b32 s82, v3, 22                                 // 000000007B2C: D2890052 00012D03
	s_and_b32 s82, s82, 0xffffff                               // 000000007B34: 8652FF52 00FFFFFF
	s_cmp_lt_u32 s82, s66                                      // 000000007B3C: BF0A4252
	s_cselect_b32 s20, s36, s60                                // 000000007B40: 85143C24
	v_readlane_b32 s82, v3, 23                                 // 000000007B44: D2890052 00012F03
	s_and_b32 s82, s82, 0xffffff                               // 000000007B4C: 8652FF52 00FFFFFF
	s_cmp_lt_u32 s82, s66                                      // 000000007B54: BF0A4252
	s_cselect_b32 s21, s36, s60                                // 000000007B58: 85153C24
	s_mov_b64 exec, s[20:21]                                   // 000000007B5C: BEFE0114
	global_atomic_add_f32 v6, v113, s[8:9]                     // 000000007B60: DD348000 00087106
	global_atomic_add_f32 v6, v117, s[8:9] offset:256          // 000000007B68: DD348100 00087506
	s_mov_b64 exec, s[36:37]                                   // 000000007B70: BEFE0124
	v_mov_b32_e32 v6, v68                                      // 000000007B74: 7E0C0344
	s_mov_b64 s[60:61], 0                                      // 000000007B78: BEBC0180
	v_readlane_b32 s82, v3, 24                                 // 000000007B7C: D2890052 00013103
	s_and_b32 s82, s82, 0xffffff                               // 000000007B84: 8652FF52 00FFFFFF
	s_cmp_lt_u32 s82, s66                                      // 000000007B8C: BF0A4252
	s_cselect_b32 s20, s36, s60                                // 000000007B90: 85143C24
	v_readlane_b32 s82, v3, 25                                 // 000000007B94: D2890052 00013303
	s_and_b32 s82, s82, 0xffffff                               // 000000007B9C: 8652FF52 00FFFFFF
	s_cmp_lt_u32 s82, s66                                      // 000000007BA4: BF0A4252
	s_cselect_b32 s21, s36, s60                                // 000000007BA8: 85153C24
	s_mov_b64 exec, s[20:21]                                   // 000000007BAC: BEFE0114
	global_atomic_add_f32 v6, v120, s[8:9]                     // 000000007BB0: DD348000 00087806
	global_atomic_add_f32 v6, v124, s[8:9] offset:256          // 000000007BB8: DD348100 00087C06
	s_mov_b64 exec, s[36:37]                                   // 000000007BC0: BEFE0124
	v_mov_b32_e32 v6, v69                                      // 000000007BC4: 7E0C0345
	s_mov_b64 s[60:61], 0                                      // 000000007BC8: BEBC0180
	v_readlane_b32 s82, v3, 26                                 // 000000007BCC: D2890052 00013503
	s_and_b32 s82, s82, 0xffffff                               // 000000007BD4: 8652FF52 00FFFFFF
	s_cmp_lt_u32 s82, s66                                      // 000000007BDC: BF0A4252
	s_cselect_b32 s20, s36, s60                                // 000000007BE0: 85143C24
	v_readlane_b32 s82, v3, 27                                 // 000000007BE4: D2890052 00013703
	s_and_b32 s82, s82, 0xffffff                               // 000000007BEC: 8652FF52 00FFFFFF
	s_cmp_lt_u32 s82, s66                                      // 000000007BF4: BF0A4252
	s_cselect_b32 s21, s36, s60                                // 000000007BF8: 85153C24
	s_mov_b64 exec, s[20:21]                                   // 000000007BFC: BEFE0114
	global_atomic_add_f32 v6, v121, s[8:9]                     // 000000007C00: DD348000 00087906
	global_atomic_add_f32 v6, v125, s[8:9] offset:256          // 000000007C08: DD348100 00087D06
	s_mov_b64 exec, s[36:37]                                   // 000000007C10: BEFE0124
	ds_write_b64 v20, v[74:75]                                 // 000000007C14: D89A0000 00004A14
	ds_write_b64 v20, v[78:79] offset:4352                     // 000000007C1C: D89A1100 00004E14
	ds_write_b64 v20, v[82:83] offset:8704                     // 000000007C24: D89A2200 00005214
	ds_write_b64 v20, v[86:87] offset:13056                    // 000000007C2C: D89A3300 00005614
	ds_write_b64 v20, v[90:91] offset:17408                    // 000000007C34: D89A4400 00005A14
	ds_write_b64 v20, v[94:95] offset:21760                    // 000000007C3C: D89A5500 00005E14
	ds_write_b64 v20, v[98:99] offset:26112                    // 000000007C44: D89A6600 00006214
	ds_write_b64 v20, v[102:103] offset:2176                   // 000000007C4C: D89A0880 00006614
	ds_write_b64 v20, v[106:107] offset:6528                   // 000000007C54: D89A1980 00006A14
	ds_write_b64 v20, v[110:111] offset:10880                  // 000000007C5C: D89A2A80 00006E14
	ds_write_b64 v20, v[114:115] offset:15232                  // 000000007C64: D89A3B80 00007214
	ds_write_b64 v20, v[118:119] offset:19584                  // 000000007C6C: D89A4C80 00007614
	ds_write_b64 v20, v[122:123] offset:23936                  // 000000007C74: D89A5D80 00007A14
	ds_write_b64 v20, v[126:127] offset:28288                  // 000000007C7C: D89A6E80 00007E14
	s_waitcnt lgkmcnt(0)                                       // 000000007C84: BF8CC07F
	s_barrier                                                  // 000000007C88: BF8A0000
	ds_read_b32 v74, v21                                       // 000000007C8C: D86C0000 4A000015
	ds_read_b32 v75, v21 offset:64                             // 000000007C94: D86C0040 4B000015
	ds_read_b32 v78, v21 offset:2176                           // 000000007C9C: D86C0880 4E000015
	ds_read_b32 v79, v21 offset:2240                           // 000000007CA4: D86C08C0 4F000015
	ds_read_b32 v82, v21 offset:4352                           // 000000007CAC: D86C1100 52000015
	ds_read_b32 v83, v21 offset:4416                           // 000000007CB4: D86C1140 53000015
	ds_read_b32 v86, v21 offset:6528                           // 000000007CBC: D86C1980 56000015
	ds_read_b32 v87, v21 offset:6592                           // 000000007CC4: D86C19C0 57000015
	ds_read_b32 v90, v21 offset:8704                           // 000000007CCC: D86C2200 5A000015
	ds_read_b32 v91, v21 offset:8768                           // 000000007CD4: D86C2240 5B000015
	ds_read_b32 v94, v21 offset:10880                          // 000000007CDC: D86C2A80 5E000015
	ds_read_b32 v95, v21 offset:10944                          // 000000007CE4: D86C2AC0 5F000015
	ds_read_b32 v98, v21 offset:13056                          // 000000007CEC: D86C3300 62000015
	ds_read_b32 v99, v21 offset:13120                          // 000000007CF4: D86C3340 63000015
	ds_read_b32 v102, v21 offset:15232                         // 000000007CFC: D86C3B80 66000015
	ds_read_b32 v103, v21 offset:15296                         // 000000007D04: D86C3BC0 67000015
	ds_read_b32 v106, v21 offset:17408                         // 000000007D0C: D86C4400 6A000015
	ds_read_b32 v107, v21 offset:17472                         // 000000007D14: D86C4440 6B000015
	ds_read_b32 v110, v21 offset:19584                         // 000000007D1C: D86C4C80 6E000015
	ds_read_b32 v111, v21 offset:19648                         // 000000007D24: D86C4CC0 6F000015
	ds_read_b32 v114, v21 offset:21760                         // 000000007D2C: D86C5500 72000015
	ds_read_b32 v115, v21 offset:21824                         // 000000007D34: D86C5540 73000015
	ds_read_b32 v118, v21 offset:23936                         // 000000007D3C: D86C5D80 76000015
	ds_read_b32 v119, v21 offset:24000                         // 000000007D44: D86C5DC0 77000015
	ds_read_b32 v122, v21 offset:26112                         // 000000007D4C: D86C6600 7A000015
	ds_read_b32 v123, v21 offset:26176                         // 000000007D54: D86C6640 7B000015
	ds_read_b32 v126, v21 offset:28288                         // 000000007D5C: D86C6E80 7E000015
	ds_read_b32 v127, v21 offset:28352                         // 000000007D64: D86C6EC0 7F000015
	s_waitcnt lgkmcnt(0)                                       // 000000007D6C: BF8CC07F
	v_mov_b32_e32 v7, 0                                        // 000000007D70: 7E0E0280
	s_mov_b64 exec, s[36:37]                                   // 000000007D74: BEFE0124
	v_mov_b32_e32 v6, v56                                      // 000000007D78: 7E0C0338
	s_mov_b64 s[60:61], 0                                      // 000000007D7C: BEBC0180
	v_readlane_b32 s82, v3, 0                                  // 000000007D80: D2890052 00010103
	s_and_b32 s82, s82, 0xffffff                               // 000000007D88: 8652FF52 00FFFFFF
	s_cmp_lt_u32 s82, s66                                      // 000000007D90: BF0A4252
	s_cselect_b32 s20, s36, s60                                // 000000007D94: 85143C24
	v_readlane_b32 s82, v3, 1                                  // 000000007D98: D2890052 00010303
	s_and_b32 s82, s82, 0xffffff                               // 000000007DA0: 8652FF52 00FFFFFF
	s_cmp_lt_u32 s82, s66                                      // 000000007DA8: BF0A4252
	s_cselect_b32 s21, s36, s60                                // 000000007DAC: 85153C24
	s_mov_b64 exec, s[20:21]                                   // 000000007DB0: BEFE0114
	global_atomic_add_f32 v6, v74, s[8:9] offset:8             // 000000007DB4: DD348008 00084A06
	global_atomic_add_f32 v6, v78, s[8:9] offset:264           // 000000007DBC: DD348108 00084E06
	s_mov_b64 exec, s[36:37]                                   // 000000007DC4: BEFE0124
	v_mov_b32_e32 v6, v57                                      // 000000007DC8: 7E0C0339
	s_mov_b64 s[60:61], 0                                      // 000000007DCC: BEBC0180
	v_readlane_b32 s82, v3, 2                                  // 000000007DD0: D2890052 00010503
	s_and_b32 s82, s82, 0xffffff                               // 000000007DD8: 8652FF52 00FFFFFF
	s_cmp_lt_u32 s82, s66                                      // 000000007DE0: BF0A4252
	s_cselect_b32 s20, s36, s60                                // 000000007DE4: 85143C24
	v_readlane_b32 s82, v3, 3                                  // 000000007DE8: D2890052 00010703
	s_and_b32 s82, s82, 0xffffff                               // 000000007DF0: 8652FF52 00FFFFFF
	s_cmp_lt_u32 s82, s66                                      // 000000007DF8: BF0A4252
	s_cselect_b32 s21, s36, s60                                // 000000007DFC: 85153C24
	s_mov_b64 exec, s[20:21]                                   // 000000007E00: BEFE0114
	global_atomic_add_f32 v6, v75, s[8:9] offset:8             // 000000007E04: DD348008 00084B06
	global_atomic_add_f32 v6, v79, s[8:9] offset:264           // 000000007E0C: DD348108 00084F06
	s_mov_b64 exec, s[36:37]                                   // 000000007E14: BEFE0124
	v_mov_b32_e32 v6, v58                                      // 000000007E18: 7E0C033A
	s_mov_b64 s[60:61], 0                                      // 000000007E1C: BEBC0180
	v_readlane_b32 s82, v3, 4                                  // 000000007E20: D2890052 00010903
	s_and_b32 s82, s82, 0xffffff                               // 000000007E28: 8652FF52 00FFFFFF
	s_cmp_lt_u32 s82, s66                                      // 000000007E30: BF0A4252
	s_cselect_b32 s20, s36, s60                                // 000000007E34: 85143C24
	v_readlane_b32 s82, v3, 5                                  // 000000007E38: D2890052 00010B03
	s_and_b32 s82, s82, 0xffffff                               // 000000007E40: 8652FF52 00FFFFFF
	s_cmp_lt_u32 s82, s66                                      // 000000007E48: BF0A4252
	s_cselect_b32 s21, s36, s60                                // 000000007E4C: 85153C24
	s_mov_b64 exec, s[20:21]                                   // 000000007E50: BEFE0114
	global_atomic_add_f32 v6, v82, s[8:9] offset:8             // 000000007E54: DD348008 00085206
	global_atomic_add_f32 v6, v86, s[8:9] offset:264           // 000000007E5C: DD348108 00085606
	s_mov_b64 exec, s[36:37]                                   // 000000007E64: BEFE0124
	v_mov_b32_e32 v6, v59                                      // 000000007E68: 7E0C033B
	s_mov_b64 s[60:61], 0                                      // 000000007E6C: BEBC0180
	v_readlane_b32 s82, v3, 6                                  // 000000007E70: D2890052 00010D03
	s_and_b32 s82, s82, 0xffffff                               // 000000007E78: 8652FF52 00FFFFFF
	s_cmp_lt_u32 s82, s66                                      // 000000007E80: BF0A4252
	s_cselect_b32 s20, s36, s60                                // 000000007E84: 85143C24
	v_readlane_b32 s82, v3, 7                                  // 000000007E88: D2890052 00010F03
	s_and_b32 s82, s82, 0xffffff                               // 000000007E90: 8652FF52 00FFFFFF
	s_cmp_lt_u32 s82, s66                                      // 000000007E98: BF0A4252
	s_cselect_b32 s21, s36, s60                                // 000000007E9C: 85153C24
	s_mov_b64 exec, s[20:21]                                   // 000000007EA0: BEFE0114
	global_atomic_add_f32 v6, v83, s[8:9] offset:8             // 000000007EA4: DD348008 00085306
	global_atomic_add_f32 v6, v87, s[8:9] offset:264           // 000000007EAC: DD348108 00085706
	s_mov_b64 exec, s[36:37]                                   // 000000007EB4: BEFE0124
	v_mov_b32_e32 v6, v60                                      // 000000007EB8: 7E0C033C
	s_mov_b64 s[60:61], 0                                      // 000000007EBC: BEBC0180
	v_readlane_b32 s82, v3, 8                                  // 000000007EC0: D2890052 00011103
	s_and_b32 s82, s82, 0xffffff                               // 000000007EC8: 8652FF52 00FFFFFF
	s_cmp_lt_u32 s82, s66                                      // 000000007ED0: BF0A4252
	s_cselect_b32 s20, s36, s60                                // 000000007ED4: 85143C24
	v_readlane_b32 s82, v3, 9                                  // 000000007ED8: D2890052 00011303
	s_and_b32 s82, s82, 0xffffff                               // 000000007EE0: 8652FF52 00FFFFFF
	s_cmp_lt_u32 s82, s66                                      // 000000007EE8: BF0A4252
	s_cselect_b32 s21, s36, s60                                // 000000007EEC: 85153C24
	s_mov_b64 exec, s[20:21]                                   // 000000007EF0: BEFE0114
	global_atomic_add_f32 v6, v90, s[8:9] offset:8             // 000000007EF4: DD348008 00085A06
	global_atomic_add_f32 v6, v94, s[8:9] offset:264           // 000000007EFC: DD348108 00085E06
	s_mov_b64 exec, s[36:37]                                   // 000000007F04: BEFE0124
	v_mov_b32_e32 v6, v61                                      // 000000007F08: 7E0C033D
	s_mov_b64 s[60:61], 0                                      // 000000007F0C: BEBC0180
	v_readlane_b32 s82, v3, 10                                 // 000000007F10: D2890052 00011503
	s_and_b32 s82, s82, 0xffffff                               // 000000007F18: 8652FF52 00FFFFFF
	s_cmp_lt_u32 s82, s66                                      // 000000007F20: BF0A4252
	s_cselect_b32 s20, s36, s60                                // 000000007F24: 85143C24
	v_readlane_b32 s82, v3, 11                                 // 000000007F28: D2890052 00011703
	s_and_b32 s82, s82, 0xffffff                               // 000000007F30: 8652FF52 00FFFFFF
	s_cmp_lt_u32 s82, s66                                      // 000000007F38: BF0A4252
	s_cselect_b32 s21, s36, s60                                // 000000007F3C: 85153C24
	s_mov_b64 exec, s[20:21]                                   // 000000007F40: BEFE0114
	global_atomic_add_f32 v6, v91, s[8:9] offset:8             // 000000007F44: DD348008 00085B06
	global_atomic_add_f32 v6, v95, s[8:9] offset:264           // 000000007F4C: DD348108 00085F06
	s_mov_b64 exec, s[36:37]                                   // 000000007F54: BEFE0124
	v_mov_b32_e32 v6, v62                                      // 000000007F58: 7E0C033E
	s_mov_b64 s[60:61], 0                                      // 000000007F5C: BEBC0180
	v_readlane_b32 s82, v3, 12                                 // 000000007F60: D2890052 00011903
	s_and_b32 s82, s82, 0xffffff                               // 000000007F68: 8652FF52 00FFFFFF
	s_cmp_lt_u32 s82, s66                                      // 000000007F70: BF0A4252
	s_cselect_b32 s20, s36, s60                                // 000000007F74: 85143C24
	v_readlane_b32 s82, v3, 13                                 // 000000007F78: D2890052 00011B03
	s_and_b32 s82, s82, 0xffffff                               // 000000007F80: 8652FF52 00FFFFFF
	s_cmp_lt_u32 s82, s66                                      // 000000007F88: BF0A4252
	s_cselect_b32 s21, s36, s60                                // 000000007F8C: 85153C24
	s_mov_b64 exec, s[20:21]                                   // 000000007F90: BEFE0114
	global_atomic_add_f32 v6, v98, s[8:9] offset:8             // 000000007F94: DD348008 00086206
	global_atomic_add_f32 v6, v102, s[8:9] offset:264          // 000000007F9C: DD348108 00086606
	s_mov_b64 exec, s[36:37]                                   // 000000007FA4: BEFE0124
	v_mov_b32_e32 v6, v63                                      // 000000007FA8: 7E0C033F
	s_mov_b64 s[60:61], 0                                      // 000000007FAC: BEBC0180
	v_readlane_b32 s82, v3, 14                                 // 000000007FB0: D2890052 00011D03
	s_and_b32 s82, s82, 0xffffff                               // 000000007FB8: 8652FF52 00FFFFFF
	s_cmp_lt_u32 s82, s66                                      // 000000007FC0: BF0A4252
	s_cselect_b32 s20, s36, s60                                // 000000007FC4: 85143C24
	v_readlane_b32 s82, v3, 15                                 // 000000007FC8: D2890052 00011F03
	s_and_b32 s82, s82, 0xffffff                               // 000000007FD0: 8652FF52 00FFFFFF
	s_cmp_lt_u32 s82, s66                                      // 000000007FD8: BF0A4252
	s_cselect_b32 s21, s36, s60                                // 000000007FDC: 85153C24
	s_mov_b64 exec, s[20:21]                                   // 000000007FE0: BEFE0114
	global_atomic_add_f32 v6, v99, s[8:9] offset:8             // 000000007FE4: DD348008 00086306
	global_atomic_add_f32 v6, v103, s[8:9] offset:264          // 000000007FEC: DD348108 00086706
	s_mov_b64 exec, s[36:37]                                   // 000000007FF4: BEFE0124
	v_mov_b32_e32 v6, v64                                      // 000000007FF8: 7E0C0340
	s_mov_b64 s[60:61], 0                                      // 000000007FFC: BEBC0180
	v_readlane_b32 s82, v3, 16                                 // 000000008000: D2890052 00012103
	s_and_b32 s82, s82, 0xffffff                               // 000000008008: 8652FF52 00FFFFFF
	s_cmp_lt_u32 s82, s66                                      // 000000008010: BF0A4252
	s_cselect_b32 s20, s36, s60                                // 000000008014: 85143C24
	v_readlane_b32 s82, v3, 17                                 // 000000008018: D2890052 00012303
	s_and_b32 s82, s82, 0xffffff                               // 000000008020: 8652FF52 00FFFFFF
	s_cmp_lt_u32 s82, s66                                      // 000000008028: BF0A4252
	s_cselect_b32 s21, s36, s60                                // 00000000802C: 85153C24
	s_mov_b64 exec, s[20:21]                                   // 000000008030: BEFE0114
	global_atomic_add_f32 v6, v106, s[8:9] offset:8            // 000000008034: DD348008 00086A06
	global_atomic_add_f32 v6, v110, s[8:9] offset:264          // 00000000803C: DD348108 00086E06
	s_mov_b64 exec, s[36:37]                                   // 000000008044: BEFE0124
	v_mov_b32_e32 v6, v65                                      // 000000008048: 7E0C0341
	s_mov_b64 s[60:61], 0                                      // 00000000804C: BEBC0180
	v_readlane_b32 s82, v3, 18                                 // 000000008050: D2890052 00012503
	s_and_b32 s82, s82, 0xffffff                               // 000000008058: 8652FF52 00FFFFFF
	s_cmp_lt_u32 s82, s66                                      // 000000008060: BF0A4252
	s_cselect_b32 s20, s36, s60                                // 000000008064: 85143C24
	v_readlane_b32 s82, v3, 19                                 // 000000008068: D2890052 00012703
	s_and_b32 s82, s82, 0xffffff                               // 000000008070: 8652FF52 00FFFFFF
	s_cmp_lt_u32 s82, s66                                      // 000000008078: BF0A4252
	s_cselect_b32 s21, s36, s60                                // 00000000807C: 85153C24
	s_mov_b64 exec, s[20:21]                                   // 000000008080: BEFE0114
	global_atomic_add_f32 v6, v107, s[8:9] offset:8            // 000000008084: DD348008 00086B06
	global_atomic_add_f32 v6, v111, s[8:9] offset:264          // 00000000808C: DD348108 00086F06
	s_mov_b64 exec, s[36:37]                                   // 000000008094: BEFE0124
	v_mov_b32_e32 v6, v66                                      // 000000008098: 7E0C0342
	s_mov_b64 s[60:61], 0                                      // 00000000809C: BEBC0180
	v_readlane_b32 s82, v3, 20                                 // 0000000080A0: D2890052 00012903
	s_and_b32 s82, s82, 0xffffff                               // 0000000080A8: 8652FF52 00FFFFFF
	s_cmp_lt_u32 s82, s66                                      // 0000000080B0: BF0A4252
	s_cselect_b32 s20, s36, s60                                // 0000000080B4: 85143C24
	v_readlane_b32 s82, v3, 21                                 // 0000000080B8: D2890052 00012B03
	s_and_b32 s82, s82, 0xffffff                               // 0000000080C0: 8652FF52 00FFFFFF
	s_cmp_lt_u32 s82, s66                                      // 0000000080C8: BF0A4252
	s_cselect_b32 s21, s36, s60                                // 0000000080CC: 85153C24
	s_mov_b64 exec, s[20:21]                                   // 0000000080D0: BEFE0114
	global_atomic_add_f32 v6, v114, s[8:9] offset:8            // 0000000080D4: DD348008 00087206
	global_atomic_add_f32 v6, v118, s[8:9] offset:264          // 0000000080DC: DD348108 00087606
	s_mov_b64 exec, s[36:37]                                   // 0000000080E4: BEFE0124
	v_mov_b32_e32 v6, v67                                      // 0000000080E8: 7E0C0343
	s_mov_b64 s[60:61], 0                                      // 0000000080EC: BEBC0180
	v_readlane_b32 s82, v3, 22                                 // 0000000080F0: D2890052 00012D03
	s_and_b32 s82, s82, 0xffffff                               // 0000000080F8: 8652FF52 00FFFFFF
	s_cmp_lt_u32 s82, s66                                      // 000000008100: BF0A4252
	s_cselect_b32 s20, s36, s60                                // 000000008104: 85143C24
	v_readlane_b32 s82, v3, 23                                 // 000000008108: D2890052 00012F03
	s_and_b32 s82, s82, 0xffffff                               // 000000008110: 8652FF52 00FFFFFF
	s_cmp_lt_u32 s82, s66                                      // 000000008118: BF0A4252
	s_cselect_b32 s21, s36, s60                                // 00000000811C: 85153C24
	s_mov_b64 exec, s[20:21]                                   // 000000008120: BEFE0114
	global_atomic_add_f32 v6, v115, s[8:9] offset:8            // 000000008124: DD348008 00087306
	global_atomic_add_f32 v6, v119, s[8:9] offset:264          // 00000000812C: DD348108 00087706
	s_mov_b64 exec, s[36:37]                                   // 000000008134: BEFE0124
	v_mov_b32_e32 v6, v68                                      // 000000008138: 7E0C0344
	s_mov_b64 s[60:61], 0                                      // 00000000813C: BEBC0180
	v_readlane_b32 s82, v3, 24                                 // 000000008140: D2890052 00013103
	s_and_b32 s82, s82, 0xffffff                               // 000000008148: 8652FF52 00FFFFFF
	s_cmp_lt_u32 s82, s66                                      // 000000008150: BF0A4252
	s_cselect_b32 s20, s36, s60                                // 000000008154: 85143C24
	v_readlane_b32 s82, v3, 25                                 // 000000008158: D2890052 00013303
	s_and_b32 s82, s82, 0xffffff                               // 000000008160: 8652FF52 00FFFFFF
	s_cmp_lt_u32 s82, s66                                      // 000000008168: BF0A4252
	s_cselect_b32 s21, s36, s60                                // 00000000816C: 85153C24
	s_mov_b64 exec, s[20:21]                                   // 000000008170: BEFE0114
	global_atomic_add_f32 v6, v122, s[8:9] offset:8            // 000000008174: DD348008 00087A06
	global_atomic_add_f32 v6, v126, s[8:9] offset:264          // 00000000817C: DD348108 00087E06
	s_mov_b64 exec, s[36:37]                                   // 000000008184: BEFE0124
	v_mov_b32_e32 v6, v69                                      // 000000008188: 7E0C0345
	s_mov_b64 s[60:61], 0                                      // 00000000818C: BEBC0180
	v_readlane_b32 s82, v3, 26                                 // 000000008190: D2890052 00013503
	s_and_b32 s82, s82, 0xffffff                               // 000000008198: 8652FF52 00FFFFFF
	s_cmp_lt_u32 s82, s66                                      // 0000000081A0: BF0A4252
	s_cselect_b32 s20, s36, s60                                // 0000000081A4: 85143C24
	v_readlane_b32 s82, v3, 27                                 // 0000000081A8: D2890052 00013703
	s_and_b32 s82, s82, 0xffffff                               // 0000000081B0: 8652FF52 00FFFFFF
	s_cmp_lt_u32 s82, s66                                      // 0000000081B8: BF0A4252
	s_cselect_b32 s21, s36, s60                                // 0000000081BC: 85153C24
	s_mov_b64 exec, s[20:21]                                   // 0000000081C0: BEFE0114
	global_atomic_add_f32 v6, v123, s[8:9] offset:8            // 0000000081C4: DD348008 00087B06
	global_atomic_add_f32 v6, v127, s[8:9] offset:264          // 0000000081CC: DD348108 00087F06
	s_mov_b64 exec, s[36:37]                                   // 0000000081D4: BEFE0124
	ds_write_b64 v20, v[128:129]                               // 0000000081D8: D89A0000 00008014
	ds_write_b64 v20, v[132:133] offset:4352                   // 0000000081E0: D89A1100 00008414
	ds_write_b64 v20, v[136:137] offset:8704                   // 0000000081E8: D89A2200 00008814
	ds_write_b64 v20, v[140:141] offset:13056                  // 0000000081F0: D89A3300 00008C14
	ds_write_b64 v20, v[144:145] offset:17408                  // 0000000081F8: D89A4400 00009014
	ds_write_b64 v20, v[148:149] offset:21760                  // 000000008200: D89A5500 00009414
	ds_write_b64 v20, v[152:153] offset:26112                  // 000000008208: D89A6600 00009814
	ds_write_b64 v20, v[156:157] offset:2176                   // 000000008210: D89A0880 00009C14
	ds_write_b64 v20, v[160:161] offset:6528                   // 000000008218: D89A1980 0000A014
	ds_write_b64 v20, v[164:165] offset:10880                  // 000000008220: D89A2A80 0000A414
	ds_write_b64 v20, v[168:169] offset:15232                  // 000000008228: D89A3B80 0000A814
	ds_write_b64 v20, v[172:173] offset:19584                  // 000000008230: D89A4C80 0000AC14
	ds_write_b64 v20, v[176:177] offset:23936                  // 000000008238: D89A5D80 0000B014
	ds_write_b64 v20, v[180:181] offset:28288                  // 000000008240: D89A6E80 0000B414
	s_waitcnt lgkmcnt(0)                                       // 000000008248: BF8CC07F
	s_barrier                                                  // 00000000824C: BF8A0000
	ds_read_b32 v128, v21                                      // 000000008250: D86C0000 80000015
	ds_read_b32 v129, v21 offset:64                            // 000000008258: D86C0040 81000015
	ds_read_b32 v132, v21 offset:2176                          // 000000008260: D86C0880 84000015
	ds_read_b32 v133, v21 offset:2240                          // 000000008268: D86C08C0 85000015
	ds_read_b32 v136, v21 offset:4352                          // 000000008270: D86C1100 88000015
	ds_read_b32 v137, v21 offset:4416                          // 000000008278: D86C1140 89000015
	ds_read_b32 v140, v21 offset:6528                          // 000000008280: D86C1980 8C000015
	ds_read_b32 v141, v21 offset:6592                          // 000000008288: D86C19C0 8D000015
	ds_read_b32 v144, v21 offset:8704                          // 000000008290: D86C2200 90000015
	ds_read_b32 v145, v21 offset:8768                          // 000000008298: D86C2240 91000015
	ds_read_b32 v148, v21 offset:10880                         // 0000000082A0: D86C2A80 94000015
	ds_read_b32 v149, v21 offset:10944                         // 0000000082A8: D86C2AC0 95000015
	ds_read_b32 v152, v21 offset:13056                         // 0000000082B0: D86C3300 98000015
	ds_read_b32 v153, v21 offset:13120                         // 0000000082B8: D86C3340 99000015
	ds_read_b32 v156, v21 offset:15232                         // 0000000082C0: D86C3B80 9C000015
	ds_read_b32 v157, v21 offset:15296                         // 0000000082C8: D86C3BC0 9D000015
	ds_read_b32 v160, v21 offset:17408                         // 0000000082D0: D86C4400 A0000015
	ds_read_b32 v161, v21 offset:17472                         // 0000000082D8: D86C4440 A1000015
	ds_read_b32 v164, v21 offset:19584                         // 0000000082E0: D86C4C80 A4000015
	ds_read_b32 v165, v21 offset:19648                         // 0000000082E8: D86C4CC0 A5000015
	ds_read_b32 v168, v21 offset:21760                         // 0000000082F0: D86C5500 A8000015
	ds_read_b32 v169, v21 offset:21824                         // 0000000082F8: D86C5540 A9000015
	ds_read_b32 v172, v21 offset:23936                         // 000000008300: D86C5D80 AC000015
	ds_read_b32 v173, v21 offset:24000                         // 000000008308: D86C5DC0 AD000015
	ds_read_b32 v176, v21 offset:26112                         // 000000008310: D86C6600 B0000015
	ds_read_b32 v177, v21 offset:26176                         // 000000008318: D86C6640 B1000015
	ds_read_b32 v180, v21 offset:28288                         // 000000008320: D86C6E80 B4000015
	ds_read_b32 v181, v21 offset:28352                         // 000000008328: D86C6EC0 B5000015
	s_mul_i32 s60, s65, 4                                      // 000000008330: 923C8441
	s_add_u32 s8, s60, s8                                      // 000000008334: 8008083C
	s_addc_u32 s9, 0, s9                                       // 000000008338: 82090980
	s_waitcnt lgkmcnt(0)                                       // 00000000833C: BF8CC07F
	v_mov_b32_e32 v7, 0                                        // 000000008340: 7E0E0280
	s_mov_b64 exec, s[36:37]                                   // 000000008344: BEFE0124
	v_mov_b32_e32 v6, v56                                      // 000000008348: 7E0C0338
	s_mov_b64 s[60:61], 0                                      // 00000000834C: BEBC0180
	v_readlane_b32 s82, v3, 0                                  // 000000008350: D2890052 00010103
	s_and_b32 s82, s82, 0xffffff                               // 000000008358: 8652FF52 00FFFFFF
	s_cmp_lt_u32 s82, s66                                      // 000000008360: BF0A4252
	s_cselect_b32 s20, s36, s60                                // 000000008364: 85143C24
	v_readlane_b32 s82, v3, 1                                  // 000000008368: D2890052 00010303
	s_and_b32 s82, s82, 0xffffff                               // 000000008370: 8652FF52 00FFFFFF
	s_cmp_lt_u32 s82, s66                                      // 000000008378: BF0A4252
	s_cselect_b32 s21, s36, s60                                // 00000000837C: 85153C24
	s_mov_b64 exec, s[20:21]                                   // 000000008380: BEFE0114
	global_atomic_add_f32 v6, v128, s[8:9]                     // 000000008384: DD348000 00088006
	global_atomic_add_f32 v6, v132, s[8:9] offset:256          // 00000000838C: DD348100 00088406
	s_mov_b64 exec, s[36:37]                                   // 000000008394: BEFE0124
	v_mov_b32_e32 v6, v57                                      // 000000008398: 7E0C0339
	s_mov_b64 s[60:61], 0                                      // 00000000839C: BEBC0180
	v_readlane_b32 s82, v3, 2                                  // 0000000083A0: D2890052 00010503
	s_and_b32 s82, s82, 0xffffff                               // 0000000083A8: 8652FF52 00FFFFFF
	s_cmp_lt_u32 s82, s66                                      // 0000000083B0: BF0A4252
	s_cselect_b32 s20, s36, s60                                // 0000000083B4: 85143C24
	v_readlane_b32 s82, v3, 3                                  // 0000000083B8: D2890052 00010703
	s_and_b32 s82, s82, 0xffffff                               // 0000000083C0: 8652FF52 00FFFFFF
	s_cmp_lt_u32 s82, s66                                      // 0000000083C8: BF0A4252
	s_cselect_b32 s21, s36, s60                                // 0000000083CC: 85153C24
	s_mov_b64 exec, s[20:21]                                   // 0000000083D0: BEFE0114
	global_atomic_add_f32 v6, v129, s[8:9]                     // 0000000083D4: DD348000 00088106
	global_atomic_add_f32 v6, v133, s[8:9] offset:256          // 0000000083DC: DD348100 00088506
	s_mov_b64 exec, s[36:37]                                   // 0000000083E4: BEFE0124
	v_mov_b32_e32 v6, v58                                      // 0000000083E8: 7E0C033A
	s_mov_b64 s[60:61], 0                                      // 0000000083EC: BEBC0180
	v_readlane_b32 s82, v3, 4                                  // 0000000083F0: D2890052 00010903
	s_and_b32 s82, s82, 0xffffff                               // 0000000083F8: 8652FF52 00FFFFFF
	s_cmp_lt_u32 s82, s66                                      // 000000008400: BF0A4252
	s_cselect_b32 s20, s36, s60                                // 000000008404: 85143C24
	v_readlane_b32 s82, v3, 5                                  // 000000008408: D2890052 00010B03
	s_and_b32 s82, s82, 0xffffff                               // 000000008410: 8652FF52 00FFFFFF
	s_cmp_lt_u32 s82, s66                                      // 000000008418: BF0A4252
	s_cselect_b32 s21, s36, s60                                // 00000000841C: 85153C24
	s_mov_b64 exec, s[20:21]                                   // 000000008420: BEFE0114
	global_atomic_add_f32 v6, v136, s[8:9]                     // 000000008424: DD348000 00088806
	global_atomic_add_f32 v6, v140, s[8:9] offset:256          // 00000000842C: DD348100 00088C06
	s_mov_b64 exec, s[36:37]                                   // 000000008434: BEFE0124
	v_mov_b32_e32 v6, v59                                      // 000000008438: 7E0C033B
	s_mov_b64 s[60:61], 0                                      // 00000000843C: BEBC0180
	v_readlane_b32 s82, v3, 6                                  // 000000008440: D2890052 00010D03
	s_and_b32 s82, s82, 0xffffff                               // 000000008448: 8652FF52 00FFFFFF
	s_cmp_lt_u32 s82, s66                                      // 000000008450: BF0A4252
	s_cselect_b32 s20, s36, s60                                // 000000008454: 85143C24
	v_readlane_b32 s82, v3, 7                                  // 000000008458: D2890052 00010F03
	s_and_b32 s82, s82, 0xffffff                               // 000000008460: 8652FF52 00FFFFFF
	s_cmp_lt_u32 s82, s66                                      // 000000008468: BF0A4252
	s_cselect_b32 s21, s36, s60                                // 00000000846C: 85153C24
	s_mov_b64 exec, s[20:21]                                   // 000000008470: BEFE0114
	global_atomic_add_f32 v6, v137, s[8:9]                     // 000000008474: DD348000 00088906
	global_atomic_add_f32 v6, v141, s[8:9] offset:256          // 00000000847C: DD348100 00088D06
	s_mov_b64 exec, s[36:37]                                   // 000000008484: BEFE0124
	v_mov_b32_e32 v6, v60                                      // 000000008488: 7E0C033C
	s_mov_b64 s[60:61], 0                                      // 00000000848C: BEBC0180
	v_readlane_b32 s82, v3, 8                                  // 000000008490: D2890052 00011103
	s_and_b32 s82, s82, 0xffffff                               // 000000008498: 8652FF52 00FFFFFF
	s_cmp_lt_u32 s82, s66                                      // 0000000084A0: BF0A4252
	s_cselect_b32 s20, s36, s60                                // 0000000084A4: 85143C24
	v_readlane_b32 s82, v3, 9                                  // 0000000084A8: D2890052 00011303
	s_and_b32 s82, s82, 0xffffff                               // 0000000084B0: 8652FF52 00FFFFFF
	s_cmp_lt_u32 s82, s66                                      // 0000000084B8: BF0A4252
	s_cselect_b32 s21, s36, s60                                // 0000000084BC: 85153C24
	s_mov_b64 exec, s[20:21]                                   // 0000000084C0: BEFE0114
	global_atomic_add_f32 v6, v144, s[8:9]                     // 0000000084C4: DD348000 00089006
	global_atomic_add_f32 v6, v148, s[8:9] offset:256          // 0000000084CC: DD348100 00089406
	s_mov_b64 exec, s[36:37]                                   // 0000000084D4: BEFE0124
	v_mov_b32_e32 v6, v61                                      // 0000000084D8: 7E0C033D
	s_mov_b64 s[60:61], 0                                      // 0000000084DC: BEBC0180
	v_readlane_b32 s82, v3, 10                                 // 0000000084E0: D2890052 00011503
	s_and_b32 s82, s82, 0xffffff                               // 0000000084E8: 8652FF52 00FFFFFF
	s_cmp_lt_u32 s82, s66                                      // 0000000084F0: BF0A4252
	s_cselect_b32 s20, s36, s60                                // 0000000084F4: 85143C24
	v_readlane_b32 s82, v3, 11                                 // 0000000084F8: D2890052 00011703
	s_and_b32 s82, s82, 0xffffff                               // 000000008500: 8652FF52 00FFFFFF
	s_cmp_lt_u32 s82, s66                                      // 000000008508: BF0A4252
	s_cselect_b32 s21, s36, s60                                // 00000000850C: 85153C24
	s_mov_b64 exec, s[20:21]                                   // 000000008510: BEFE0114
	global_atomic_add_f32 v6, v145, s[8:9]                     // 000000008514: DD348000 00089106
	global_atomic_add_f32 v6, v149, s[8:9] offset:256          // 00000000851C: DD348100 00089506
	s_mov_b64 exec, s[36:37]                                   // 000000008524: BEFE0124
	v_mov_b32_e32 v6, v62                                      // 000000008528: 7E0C033E
	s_mov_b64 s[60:61], 0                                      // 00000000852C: BEBC0180
	v_readlane_b32 s82, v3, 12                                 // 000000008530: D2890052 00011903
	s_and_b32 s82, s82, 0xffffff                               // 000000008538: 8652FF52 00FFFFFF
	s_cmp_lt_u32 s82, s66                                      // 000000008540: BF0A4252
	s_cselect_b32 s20, s36, s60                                // 000000008544: 85143C24
	v_readlane_b32 s82, v3, 13                                 // 000000008548: D2890052 00011B03
	s_and_b32 s82, s82, 0xffffff                               // 000000008550: 8652FF52 00FFFFFF
	s_cmp_lt_u32 s82, s66                                      // 000000008558: BF0A4252
	s_cselect_b32 s21, s36, s60                                // 00000000855C: 85153C24
	s_mov_b64 exec, s[20:21]                                   // 000000008560: BEFE0114
	global_atomic_add_f32 v6, v152, s[8:9]                     // 000000008564: DD348000 00089806
	global_atomic_add_f32 v6, v156, s[8:9] offset:256          // 00000000856C: DD348100 00089C06
	s_mov_b64 exec, s[36:37]                                   // 000000008574: BEFE0124
	v_mov_b32_e32 v6, v63                                      // 000000008578: 7E0C033F
	s_mov_b64 s[60:61], 0                                      // 00000000857C: BEBC0180
	v_readlane_b32 s82, v3, 14                                 // 000000008580: D2890052 00011D03
	s_and_b32 s82, s82, 0xffffff                               // 000000008588: 8652FF52 00FFFFFF
	s_cmp_lt_u32 s82, s66                                      // 000000008590: BF0A4252
	s_cselect_b32 s20, s36, s60                                // 000000008594: 85143C24
	v_readlane_b32 s82, v3, 15                                 // 000000008598: D2890052 00011F03
	s_and_b32 s82, s82, 0xffffff                               // 0000000085A0: 8652FF52 00FFFFFF
	s_cmp_lt_u32 s82, s66                                      // 0000000085A8: BF0A4252
	s_cselect_b32 s21, s36, s60                                // 0000000085AC: 85153C24
	s_mov_b64 exec, s[20:21]                                   // 0000000085B0: BEFE0114
	global_atomic_add_f32 v6, v153, s[8:9]                     // 0000000085B4: DD348000 00089906
	global_atomic_add_f32 v6, v157, s[8:9] offset:256          // 0000000085BC: DD348100 00089D06
	s_mov_b64 exec, s[36:37]                                   // 0000000085C4: BEFE0124
	v_mov_b32_e32 v6, v64                                      // 0000000085C8: 7E0C0340
	s_mov_b64 s[60:61], 0                                      // 0000000085CC: BEBC0180
	v_readlane_b32 s82, v3, 16                                 // 0000000085D0: D2890052 00012103
	s_and_b32 s82, s82, 0xffffff                               // 0000000085D8: 8652FF52 00FFFFFF
	s_cmp_lt_u32 s82, s66                                      // 0000000085E0: BF0A4252
	s_cselect_b32 s20, s36, s60                                // 0000000085E4: 85143C24
	v_readlane_b32 s82, v3, 17                                 // 0000000085E8: D2890052 00012303
	s_and_b32 s82, s82, 0xffffff                               // 0000000085F0: 8652FF52 00FFFFFF
	s_cmp_lt_u32 s82, s66                                      // 0000000085F8: BF0A4252
	s_cselect_b32 s21, s36, s60                                // 0000000085FC: 85153C24
	s_mov_b64 exec, s[20:21]                                   // 000000008600: BEFE0114
	global_atomic_add_f32 v6, v160, s[8:9]                     // 000000008604: DD348000 0008A006
	global_atomic_add_f32 v6, v164, s[8:9] offset:256          // 00000000860C: DD348100 0008A406
	s_mov_b64 exec, s[36:37]                                   // 000000008614: BEFE0124
	v_mov_b32_e32 v6, v65                                      // 000000008618: 7E0C0341
	s_mov_b64 s[60:61], 0                                      // 00000000861C: BEBC0180
	v_readlane_b32 s82, v3, 18                                 // 000000008620: D2890052 00012503
	s_and_b32 s82, s82, 0xffffff                               // 000000008628: 8652FF52 00FFFFFF
	s_cmp_lt_u32 s82, s66                                      // 000000008630: BF0A4252
	s_cselect_b32 s20, s36, s60                                // 000000008634: 85143C24
	v_readlane_b32 s82, v3, 19                                 // 000000008638: D2890052 00012703
	s_and_b32 s82, s82, 0xffffff                               // 000000008640: 8652FF52 00FFFFFF
	s_cmp_lt_u32 s82, s66                                      // 000000008648: BF0A4252
	s_cselect_b32 s21, s36, s60                                // 00000000864C: 85153C24
	s_mov_b64 exec, s[20:21]                                   // 000000008650: BEFE0114
	global_atomic_add_f32 v6, v161, s[8:9]                     // 000000008654: DD348000 0008A106
	global_atomic_add_f32 v6, v165, s[8:9] offset:256          // 00000000865C: DD348100 0008A506
	s_mov_b64 exec, s[36:37]                                   // 000000008664: BEFE0124
	v_mov_b32_e32 v6, v66                                      // 000000008668: 7E0C0342
	s_mov_b64 s[60:61], 0                                      // 00000000866C: BEBC0180
	v_readlane_b32 s82, v3, 20                                 // 000000008670: D2890052 00012903
	s_and_b32 s82, s82, 0xffffff                               // 000000008678: 8652FF52 00FFFFFF
	s_cmp_lt_u32 s82, s66                                      // 000000008680: BF0A4252
	s_cselect_b32 s20, s36, s60                                // 000000008684: 85143C24
	v_readlane_b32 s82, v3, 21                                 // 000000008688: D2890052 00012B03
	s_and_b32 s82, s82, 0xffffff                               // 000000008690: 8652FF52 00FFFFFF
	s_cmp_lt_u32 s82, s66                                      // 000000008698: BF0A4252
	s_cselect_b32 s21, s36, s60                                // 00000000869C: 85153C24
	s_mov_b64 exec, s[20:21]                                   // 0000000086A0: BEFE0114
	global_atomic_add_f32 v6, v168, s[8:9]                     // 0000000086A4: DD348000 0008A806
	global_atomic_add_f32 v6, v172, s[8:9] offset:256          // 0000000086AC: DD348100 0008AC06
	s_mov_b64 exec, s[36:37]                                   // 0000000086B4: BEFE0124
	v_mov_b32_e32 v6, v67                                      // 0000000086B8: 7E0C0343
	s_mov_b64 s[60:61], 0                                      // 0000000086BC: BEBC0180
	v_readlane_b32 s82, v3, 22                                 // 0000000086C0: D2890052 00012D03
	s_and_b32 s82, s82, 0xffffff                               // 0000000086C8: 8652FF52 00FFFFFF
	s_cmp_lt_u32 s82, s66                                      // 0000000086D0: BF0A4252
	s_cselect_b32 s20, s36, s60                                // 0000000086D4: 85143C24
	v_readlane_b32 s82, v3, 23                                 // 0000000086D8: D2890052 00012F03
	s_and_b32 s82, s82, 0xffffff                               // 0000000086E0: 8652FF52 00FFFFFF
	s_cmp_lt_u32 s82, s66                                      // 0000000086E8: BF0A4252
	s_cselect_b32 s21, s36, s60                                // 0000000086EC: 85153C24
	s_mov_b64 exec, s[20:21]                                   // 0000000086F0: BEFE0114
	global_atomic_add_f32 v6, v169, s[8:9]                     // 0000000086F4: DD348000 0008A906
	global_atomic_add_f32 v6, v173, s[8:9] offset:256          // 0000000086FC: DD348100 0008AD06
	s_mov_b64 exec, s[36:37]                                   // 000000008704: BEFE0124
	v_mov_b32_e32 v6, v68                                      // 000000008708: 7E0C0344
	s_mov_b64 s[60:61], 0                                      // 00000000870C: BEBC0180
	v_readlane_b32 s82, v3, 24                                 // 000000008710: D2890052 00013103
	s_and_b32 s82, s82, 0xffffff                               // 000000008718: 8652FF52 00FFFFFF
	s_cmp_lt_u32 s82, s66                                      // 000000008720: BF0A4252
	s_cselect_b32 s20, s36, s60                                // 000000008724: 85143C24
	v_readlane_b32 s82, v3, 25                                 // 000000008728: D2890052 00013303
	s_and_b32 s82, s82, 0xffffff                               // 000000008730: 8652FF52 00FFFFFF
	s_cmp_lt_u32 s82, s66                                      // 000000008738: BF0A4252
	s_cselect_b32 s21, s36, s60                                // 00000000873C: 85153C24
	s_mov_b64 exec, s[20:21]                                   // 000000008740: BEFE0114
	global_atomic_add_f32 v6, v176, s[8:9]                     // 000000008744: DD348000 0008B006
	global_atomic_add_f32 v6, v180, s[8:9] offset:256          // 00000000874C: DD348100 0008B406
	s_mov_b64 exec, s[36:37]                                   // 000000008754: BEFE0124
	v_mov_b32_e32 v6, v69                                      // 000000008758: 7E0C0345
	s_mov_b64 s[60:61], 0                                      // 00000000875C: BEBC0180
	v_readlane_b32 s82, v3, 26                                 // 000000008760: D2890052 00013503
	s_and_b32 s82, s82, 0xffffff                               // 000000008768: 8652FF52 00FFFFFF
	s_cmp_lt_u32 s82, s66                                      // 000000008770: BF0A4252
	s_cselect_b32 s20, s36, s60                                // 000000008774: 85143C24
	v_readlane_b32 s82, v3, 27                                 // 000000008778: D2890052 00013703
	s_and_b32 s82, s82, 0xffffff                               // 000000008780: 8652FF52 00FFFFFF
	s_cmp_lt_u32 s82, s66                                      // 000000008788: BF0A4252
	s_cselect_b32 s21, s36, s60                                // 00000000878C: 85153C24
	s_mov_b64 exec, s[20:21]                                   // 000000008790: BEFE0114
	global_atomic_add_f32 v6, v177, s[8:9]                     // 000000008794: DD348000 0008B106
	global_atomic_add_f32 v6, v181, s[8:9] offset:256          // 00000000879C: DD348100 0008B506
	s_mov_b64 exec, s[36:37]                                   // 0000000087A4: BEFE0124
	ds_write_b64 v20, v[130:131]                               // 0000000087A8: D89A0000 00008214
	ds_write_b64 v20, v[134:135] offset:4352                   // 0000000087B0: D89A1100 00008614
	ds_write_b64 v20, v[138:139] offset:8704                   // 0000000087B8: D89A2200 00008A14
	ds_write_b64 v20, v[142:143] offset:13056                  // 0000000087C0: D89A3300 00008E14
	ds_write_b64 v20, v[146:147] offset:17408                  // 0000000087C8: D89A4400 00009214
	ds_write_b64 v20, v[150:151] offset:21760                  // 0000000087D0: D89A5500 00009614
	ds_write_b64 v20, v[154:155] offset:26112                  // 0000000087D8: D89A6600 00009A14
	ds_write_b64 v20, v[158:159] offset:2176                   // 0000000087E0: D89A0880 00009E14
	ds_write_b64 v20, v[162:163] offset:6528                   // 0000000087E8: D89A1980 0000A214
	ds_write_b64 v20, v[166:167] offset:10880                  // 0000000087F0: D89A2A80 0000A614
	ds_write_b64 v20, v[170:171] offset:15232                  // 0000000087F8: D89A3B80 0000AA14
	ds_write_b64 v20, v[174:175] offset:19584                  // 000000008800: D89A4C80 0000AE14
	ds_write_b64 v20, v[178:179] offset:23936                  // 000000008808: D89A5D80 0000B214
	ds_write_b64 v20, v[182:183] offset:28288                  // 000000008810: D89A6E80 0000B614
	s_waitcnt lgkmcnt(0)                                       // 000000008818: BF8CC07F
	s_barrier                                                  // 00000000881C: BF8A0000
	ds_read_b32 v130, v21                                      // 000000008820: D86C0000 82000015
	ds_read_b32 v131, v21 offset:64                            // 000000008828: D86C0040 83000015
	ds_read_b32 v134, v21 offset:2176                          // 000000008830: D86C0880 86000015
	ds_read_b32 v135, v21 offset:2240                          // 000000008838: D86C08C0 87000015
	ds_read_b32 v138, v21 offset:4352                          // 000000008840: D86C1100 8A000015
	ds_read_b32 v139, v21 offset:4416                          // 000000008848: D86C1140 8B000015
	ds_read_b32 v142, v21 offset:6528                          // 000000008850: D86C1980 8E000015
	ds_read_b32 v143, v21 offset:6592                          // 000000008858: D86C19C0 8F000015
	ds_read_b32 v146, v21 offset:8704                          // 000000008860: D86C2200 92000015
	ds_read_b32 v147, v21 offset:8768                          // 000000008868: D86C2240 93000015
	ds_read_b32 v150, v21 offset:10880                         // 000000008870: D86C2A80 96000015
	ds_read_b32 v151, v21 offset:10944                         // 000000008878: D86C2AC0 97000015
	ds_read_b32 v154, v21 offset:13056                         // 000000008880: D86C3300 9A000015
	ds_read_b32 v155, v21 offset:13120                         // 000000008888: D86C3340 9B000015
	ds_read_b32 v158, v21 offset:15232                         // 000000008890: D86C3B80 9E000015
	ds_read_b32 v159, v21 offset:15296                         // 000000008898: D86C3BC0 9F000015
	ds_read_b32 v162, v21 offset:17408                         // 0000000088A0: D86C4400 A2000015
	ds_read_b32 v163, v21 offset:17472                         // 0000000088A8: D86C4440 A3000015
	ds_read_b32 v166, v21 offset:19584                         // 0000000088B0: D86C4C80 A6000015
	ds_read_b32 v167, v21 offset:19648                         // 0000000088B8: D86C4CC0 A7000015
	ds_read_b32 v170, v21 offset:21760                         // 0000000088C0: D86C5500 AA000015
	ds_read_b32 v171, v21 offset:21824                         // 0000000088C8: D86C5540 AB000015
	ds_read_b32 v174, v21 offset:23936                         // 0000000088D0: D86C5D80 AE000015
	ds_read_b32 v175, v21 offset:24000                         // 0000000088D8: D86C5DC0 AF000015
	ds_read_b32 v178, v21 offset:26112                         // 0000000088E0: D86C6600 B2000015
	ds_read_b32 v179, v21 offset:26176                         // 0000000088E8: D86C6640 B3000015
	ds_read_b32 v182, v21 offset:28288                         // 0000000088F0: D86C6E80 B6000015
	ds_read_b32 v183, v21 offset:28352                         // 0000000088F8: D86C6EC0 B7000015
	s_waitcnt lgkmcnt(0)                                       // 000000008900: BF8CC07F
	v_mov_b32_e32 v7, 0                                        // 000000008904: 7E0E0280
	s_mov_b64 exec, s[36:37]                                   // 000000008908: BEFE0124
	v_mov_b32_e32 v6, v56                                      // 00000000890C: 7E0C0338
	s_mov_b64 s[60:61], 0                                      // 000000008910: BEBC0180
	v_readlane_b32 s82, v3, 0                                  // 000000008914: D2890052 00010103
	s_and_b32 s82, s82, 0xffffff                               // 00000000891C: 8652FF52 00FFFFFF
	s_cmp_lt_u32 s82, s66                                      // 000000008924: BF0A4252
	s_cselect_b32 s20, s36, s60                                // 000000008928: 85143C24
	v_readlane_b32 s82, v3, 1                                  // 00000000892C: D2890052 00010303
	s_and_b32 s82, s82, 0xffffff                               // 000000008934: 8652FF52 00FFFFFF
	s_cmp_lt_u32 s82, s66                                      // 00000000893C: BF0A4252
	s_cselect_b32 s21, s36, s60                                // 000000008940: 85153C24
	s_mov_b64 exec, s[20:21]                                   // 000000008944: BEFE0114
	global_atomic_add_f32 v6, v130, s[8:9] offset:8            // 000000008948: DD348008 00088206
	global_atomic_add_f32 v6, v134, s[8:9] offset:264          // 000000008950: DD348108 00088606
	s_mov_b64 exec, s[36:37]                                   // 000000008958: BEFE0124
	v_mov_b32_e32 v6, v57                                      // 00000000895C: 7E0C0339
	s_mov_b64 s[60:61], 0                                      // 000000008960: BEBC0180
	v_readlane_b32 s82, v3, 2                                  // 000000008964: D2890052 00010503
	s_and_b32 s82, s82, 0xffffff                               // 00000000896C: 8652FF52 00FFFFFF
	s_cmp_lt_u32 s82, s66                                      // 000000008974: BF0A4252
	s_cselect_b32 s20, s36, s60                                // 000000008978: 85143C24
	v_readlane_b32 s82, v3, 3                                  // 00000000897C: D2890052 00010703
	s_and_b32 s82, s82, 0xffffff                               // 000000008984: 8652FF52 00FFFFFF
	s_cmp_lt_u32 s82, s66                                      // 00000000898C: BF0A4252
	s_cselect_b32 s21, s36, s60                                // 000000008990: 85153C24
	s_mov_b64 exec, s[20:21]                                   // 000000008994: BEFE0114
	global_atomic_add_f32 v6, v131, s[8:9] offset:8            // 000000008998: DD348008 00088306
	global_atomic_add_f32 v6, v135, s[8:9] offset:264          // 0000000089A0: DD348108 00088706
	s_mov_b64 exec, s[36:37]                                   // 0000000089A8: BEFE0124
	v_mov_b32_e32 v6, v58                                      // 0000000089AC: 7E0C033A
	s_mov_b64 s[60:61], 0                                      // 0000000089B0: BEBC0180
	v_readlane_b32 s82, v3, 4                                  // 0000000089B4: D2890052 00010903
	s_and_b32 s82, s82, 0xffffff                               // 0000000089BC: 8652FF52 00FFFFFF
	s_cmp_lt_u32 s82, s66                                      // 0000000089C4: BF0A4252
	s_cselect_b32 s20, s36, s60                                // 0000000089C8: 85143C24
	v_readlane_b32 s82, v3, 5                                  // 0000000089CC: D2890052 00010B03
	s_and_b32 s82, s82, 0xffffff                               // 0000000089D4: 8652FF52 00FFFFFF
	s_cmp_lt_u32 s82, s66                                      // 0000000089DC: BF0A4252
	s_cselect_b32 s21, s36, s60                                // 0000000089E0: 85153C24
	s_mov_b64 exec, s[20:21]                                   // 0000000089E4: BEFE0114
	global_atomic_add_f32 v6, v138, s[8:9] offset:8            // 0000000089E8: DD348008 00088A06
	global_atomic_add_f32 v6, v142, s[8:9] offset:264          // 0000000089F0: DD348108 00088E06
	s_mov_b64 exec, s[36:37]                                   // 0000000089F8: BEFE0124
	v_mov_b32_e32 v6, v59                                      // 0000000089FC: 7E0C033B
	s_mov_b64 s[60:61], 0                                      // 000000008A00: BEBC0180
	v_readlane_b32 s82, v3, 6                                  // 000000008A04: D2890052 00010D03
	s_and_b32 s82, s82, 0xffffff                               // 000000008A0C: 8652FF52 00FFFFFF
	s_cmp_lt_u32 s82, s66                                      // 000000008A14: BF0A4252
	s_cselect_b32 s20, s36, s60                                // 000000008A18: 85143C24
	v_readlane_b32 s82, v3, 7                                  // 000000008A1C: D2890052 00010F03
	s_and_b32 s82, s82, 0xffffff                               // 000000008A24: 8652FF52 00FFFFFF
	s_cmp_lt_u32 s82, s66                                      // 000000008A2C: BF0A4252
	s_cselect_b32 s21, s36, s60                                // 000000008A30: 85153C24
	s_mov_b64 exec, s[20:21]                                   // 000000008A34: BEFE0114
	global_atomic_add_f32 v6, v139, s[8:9] offset:8            // 000000008A38: DD348008 00088B06
	global_atomic_add_f32 v6, v143, s[8:9] offset:264          // 000000008A40: DD348108 00088F06
	s_mov_b64 exec, s[36:37]                                   // 000000008A48: BEFE0124
	v_mov_b32_e32 v6, v60                                      // 000000008A4C: 7E0C033C
	s_mov_b64 s[60:61], 0                                      // 000000008A50: BEBC0180
	v_readlane_b32 s82, v3, 8                                  // 000000008A54: D2890052 00011103
	s_and_b32 s82, s82, 0xffffff                               // 000000008A5C: 8652FF52 00FFFFFF
	s_cmp_lt_u32 s82, s66                                      // 000000008A64: BF0A4252
	s_cselect_b32 s20, s36, s60                                // 000000008A68: 85143C24
	v_readlane_b32 s82, v3, 9                                  // 000000008A6C: D2890052 00011303
	s_and_b32 s82, s82, 0xffffff                               // 000000008A74: 8652FF52 00FFFFFF
	s_cmp_lt_u32 s82, s66                                      // 000000008A7C: BF0A4252
	s_cselect_b32 s21, s36, s60                                // 000000008A80: 85153C24
	s_mov_b64 exec, s[20:21]                                   // 000000008A84: BEFE0114
	global_atomic_add_f32 v6, v146, s[8:9] offset:8            // 000000008A88: DD348008 00089206
	global_atomic_add_f32 v6, v150, s[8:9] offset:264          // 000000008A90: DD348108 00089606
	s_mov_b64 exec, s[36:37]                                   // 000000008A98: BEFE0124
	v_mov_b32_e32 v6, v61                                      // 000000008A9C: 7E0C033D
	s_mov_b64 s[60:61], 0                                      // 000000008AA0: BEBC0180
	v_readlane_b32 s82, v3, 10                                 // 000000008AA4: D2890052 00011503
	s_and_b32 s82, s82, 0xffffff                               // 000000008AAC: 8652FF52 00FFFFFF
	s_cmp_lt_u32 s82, s66                                      // 000000008AB4: BF0A4252
	s_cselect_b32 s20, s36, s60                                // 000000008AB8: 85143C24
	v_readlane_b32 s82, v3, 11                                 // 000000008ABC: D2890052 00011703
	s_and_b32 s82, s82, 0xffffff                               // 000000008AC4: 8652FF52 00FFFFFF
	s_cmp_lt_u32 s82, s66                                      // 000000008ACC: BF0A4252
	s_cselect_b32 s21, s36, s60                                // 000000008AD0: 85153C24
	s_mov_b64 exec, s[20:21]                                   // 000000008AD4: BEFE0114
	global_atomic_add_f32 v6, v147, s[8:9] offset:8            // 000000008AD8: DD348008 00089306
	global_atomic_add_f32 v6, v151, s[8:9] offset:264          // 000000008AE0: DD348108 00089706
	s_mov_b64 exec, s[36:37]                                   // 000000008AE8: BEFE0124
	v_mov_b32_e32 v6, v62                                      // 000000008AEC: 7E0C033E
	s_mov_b64 s[60:61], 0                                      // 000000008AF0: BEBC0180
	v_readlane_b32 s82, v3, 12                                 // 000000008AF4: D2890052 00011903
	s_and_b32 s82, s82, 0xffffff                               // 000000008AFC: 8652FF52 00FFFFFF
	s_cmp_lt_u32 s82, s66                                      // 000000008B04: BF0A4252
	s_cselect_b32 s20, s36, s60                                // 000000008B08: 85143C24
	v_readlane_b32 s82, v3, 13                                 // 000000008B0C: D2890052 00011B03
	s_and_b32 s82, s82, 0xffffff                               // 000000008B14: 8652FF52 00FFFFFF
	s_cmp_lt_u32 s82, s66                                      // 000000008B1C: BF0A4252
	s_cselect_b32 s21, s36, s60                                // 000000008B20: 85153C24
	s_mov_b64 exec, s[20:21]                                   // 000000008B24: BEFE0114
	global_atomic_add_f32 v6, v154, s[8:9] offset:8            // 000000008B28: DD348008 00089A06
	global_atomic_add_f32 v6, v158, s[8:9] offset:264          // 000000008B30: DD348108 00089E06
	s_mov_b64 exec, s[36:37]                                   // 000000008B38: BEFE0124
	v_mov_b32_e32 v6, v63                                      // 000000008B3C: 7E0C033F
	s_mov_b64 s[60:61], 0                                      // 000000008B40: BEBC0180
	v_readlane_b32 s82, v3, 14                                 // 000000008B44: D2890052 00011D03
	s_and_b32 s82, s82, 0xffffff                               // 000000008B4C: 8652FF52 00FFFFFF
	s_cmp_lt_u32 s82, s66                                      // 000000008B54: BF0A4252
	s_cselect_b32 s20, s36, s60                                // 000000008B58: 85143C24
	v_readlane_b32 s82, v3, 15                                 // 000000008B5C: D2890052 00011F03
	s_and_b32 s82, s82, 0xffffff                               // 000000008B64: 8652FF52 00FFFFFF
	s_cmp_lt_u32 s82, s66                                      // 000000008B6C: BF0A4252
	s_cselect_b32 s21, s36, s60                                // 000000008B70: 85153C24
	s_mov_b64 exec, s[20:21]                                   // 000000008B74: BEFE0114
	global_atomic_add_f32 v6, v155, s[8:9] offset:8            // 000000008B78: DD348008 00089B06
	global_atomic_add_f32 v6, v159, s[8:9] offset:264          // 000000008B80: DD348108 00089F06
	s_mov_b64 exec, s[36:37]                                   // 000000008B88: BEFE0124
	v_mov_b32_e32 v6, v64                                      // 000000008B8C: 7E0C0340
	s_mov_b64 s[60:61], 0                                      // 000000008B90: BEBC0180
	v_readlane_b32 s82, v3, 16                                 // 000000008B94: D2890052 00012103
	s_and_b32 s82, s82, 0xffffff                               // 000000008B9C: 8652FF52 00FFFFFF
	s_cmp_lt_u32 s82, s66                                      // 000000008BA4: BF0A4252
	s_cselect_b32 s20, s36, s60                                // 000000008BA8: 85143C24
	v_readlane_b32 s82, v3, 17                                 // 000000008BAC: D2890052 00012303
	s_and_b32 s82, s82, 0xffffff                               // 000000008BB4: 8652FF52 00FFFFFF
	s_cmp_lt_u32 s82, s66                                      // 000000008BBC: BF0A4252
	s_cselect_b32 s21, s36, s60                                // 000000008BC0: 85153C24
	s_mov_b64 exec, s[20:21]                                   // 000000008BC4: BEFE0114
	global_atomic_add_f32 v6, v162, s[8:9] offset:8            // 000000008BC8: DD348008 0008A206
	global_atomic_add_f32 v6, v166, s[8:9] offset:264          // 000000008BD0: DD348108 0008A606
	s_mov_b64 exec, s[36:37]                                   // 000000008BD8: BEFE0124
	v_mov_b32_e32 v6, v65                                      // 000000008BDC: 7E0C0341
	s_mov_b64 s[60:61], 0                                      // 000000008BE0: BEBC0180
	v_readlane_b32 s82, v3, 18                                 // 000000008BE4: D2890052 00012503
	s_and_b32 s82, s82, 0xffffff                               // 000000008BEC: 8652FF52 00FFFFFF
	s_cmp_lt_u32 s82, s66                                      // 000000008BF4: BF0A4252
	s_cselect_b32 s20, s36, s60                                // 000000008BF8: 85143C24
	v_readlane_b32 s82, v3, 19                                 // 000000008BFC: D2890052 00012703
	s_and_b32 s82, s82, 0xffffff                               // 000000008C04: 8652FF52 00FFFFFF
	s_cmp_lt_u32 s82, s66                                      // 000000008C0C: BF0A4252
	s_cselect_b32 s21, s36, s60                                // 000000008C10: 85153C24
	s_mov_b64 exec, s[20:21]                                   // 000000008C14: BEFE0114
	global_atomic_add_f32 v6, v163, s[8:9] offset:8            // 000000008C18: DD348008 0008A306
	global_atomic_add_f32 v6, v167, s[8:9] offset:264          // 000000008C20: DD348108 0008A706
	s_mov_b64 exec, s[36:37]                                   // 000000008C28: BEFE0124
	v_mov_b32_e32 v6, v66                                      // 000000008C2C: 7E0C0342
	s_mov_b64 s[60:61], 0                                      // 000000008C30: BEBC0180
	v_readlane_b32 s82, v3, 20                                 // 000000008C34: D2890052 00012903
	s_and_b32 s82, s82, 0xffffff                               // 000000008C3C: 8652FF52 00FFFFFF
	s_cmp_lt_u32 s82, s66                                      // 000000008C44: BF0A4252
	s_cselect_b32 s20, s36, s60                                // 000000008C48: 85143C24
	v_readlane_b32 s82, v3, 21                                 // 000000008C4C: D2890052 00012B03
	s_and_b32 s82, s82, 0xffffff                               // 000000008C54: 8652FF52 00FFFFFF
	s_cmp_lt_u32 s82, s66                                      // 000000008C5C: BF0A4252
	s_cselect_b32 s21, s36, s60                                // 000000008C60: 85153C24
	s_mov_b64 exec, s[20:21]                                   // 000000008C64: BEFE0114
	global_atomic_add_f32 v6, v170, s[8:9] offset:8            // 000000008C68: DD348008 0008AA06
	global_atomic_add_f32 v6, v174, s[8:9] offset:264          // 000000008C70: DD348108 0008AE06
	s_mov_b64 exec, s[36:37]                                   // 000000008C78: BEFE0124
	v_mov_b32_e32 v6, v67                                      // 000000008C7C: 7E0C0343
	s_mov_b64 s[60:61], 0                                      // 000000008C80: BEBC0180
	v_readlane_b32 s82, v3, 22                                 // 000000008C84: D2890052 00012D03
	s_and_b32 s82, s82, 0xffffff                               // 000000008C8C: 8652FF52 00FFFFFF
	s_cmp_lt_u32 s82, s66                                      // 000000008C94: BF0A4252
	s_cselect_b32 s20, s36, s60                                // 000000008C98: 85143C24
	v_readlane_b32 s82, v3, 23                                 // 000000008C9C: D2890052 00012F03
	s_and_b32 s82, s82, 0xffffff                               // 000000008CA4: 8652FF52 00FFFFFF
	s_cmp_lt_u32 s82, s66                                      // 000000008CAC: BF0A4252
	s_cselect_b32 s21, s36, s60                                // 000000008CB0: 85153C24
	s_mov_b64 exec, s[20:21]                                   // 000000008CB4: BEFE0114
	global_atomic_add_f32 v6, v171, s[8:9] offset:8            // 000000008CB8: DD348008 0008AB06
	global_atomic_add_f32 v6, v175, s[8:9] offset:264          // 000000008CC0: DD348108 0008AF06
	s_mov_b64 exec, s[36:37]                                   // 000000008CC8: BEFE0124
	v_mov_b32_e32 v6, v68                                      // 000000008CCC: 7E0C0344
	s_mov_b64 s[60:61], 0                                      // 000000008CD0: BEBC0180
	v_readlane_b32 s82, v3, 24                                 // 000000008CD4: D2890052 00013103
	s_and_b32 s82, s82, 0xffffff                               // 000000008CDC: 8652FF52 00FFFFFF
	s_cmp_lt_u32 s82, s66                                      // 000000008CE4: BF0A4252
	s_cselect_b32 s20, s36, s60                                // 000000008CE8: 85143C24
	v_readlane_b32 s82, v3, 25                                 // 000000008CEC: D2890052 00013303
	s_and_b32 s82, s82, 0xffffff                               // 000000008CF4: 8652FF52 00FFFFFF
	s_cmp_lt_u32 s82, s66                                      // 000000008CFC: BF0A4252
	s_cselect_b32 s21, s36, s60                                // 000000008D00: 85153C24
	s_mov_b64 exec, s[20:21]                                   // 000000008D04: BEFE0114
	global_atomic_add_f32 v6, v178, s[8:9] offset:8            // 000000008D08: DD348008 0008B206
	global_atomic_add_f32 v6, v182, s[8:9] offset:264          // 000000008D10: DD348108 0008B606
	s_mov_b64 exec, s[36:37]                                   // 000000008D18: BEFE0124
	v_mov_b32_e32 v6, v69                                      // 000000008D1C: 7E0C0345
	s_mov_b64 s[60:61], 0                                      // 000000008D20: BEBC0180
	v_readlane_b32 s82, v3, 26                                 // 000000008D24: D2890052 00013503
	s_and_b32 s82, s82, 0xffffff                               // 000000008D2C: 8652FF52 00FFFFFF
	s_cmp_lt_u32 s82, s66                                      // 000000008D34: BF0A4252
	s_cselect_b32 s20, s36, s60                                // 000000008D38: 85143C24
	v_readlane_b32 s82, v3, 27                                 // 000000008D3C: D2890052 00013703
	s_and_b32 s82, s82, 0xffffff                               // 000000008D44: 8652FF52 00FFFFFF
	s_cmp_lt_u32 s82, s66                                      // 000000008D4C: BF0A4252
	s_cselect_b32 s21, s36, s60                                // 000000008D50: 85153C24
	s_mov_b64 exec, s[20:21]                                   // 000000008D54: BEFE0114
	global_atomic_add_f32 v6, v179, s[8:9] offset:8            // 000000008D58: DD348008 0008B306
	global_atomic_add_f32 v6, v183, s[8:9] offset:264          // 000000008D60: DD348108 0008B706
	s_mov_b64 exec, s[36:37]                                   // 000000008D68: BEFE0124
	s_branch label_2E60                                        // 000000008D6C: BF821581

0000000000008d70 <label_18DF>:
	s_waitcnt vmcnt(2) lgkmcnt(0)                              // 000000008D70: BF8C0072
	s_barrier                                                  // 000000008D74: BF8A0000
	v_mov_b32_e32 v49, v35                                     // 000000008D78: 7E620323
	v_mov_b32_e32 v50, v36                                     // 000000008D7C: 7E640324
	v_mov_b32_e32 v51, v37                                     // 000000008D80: 7E660325
	v_mov_b32_e32 v52, v38                                     // 000000008D84: 7E680326
	v_mov_b32_e32 v53, v39                                     // 000000008D88: 7E6A0327
	v_mov_b32_e32 v54, v40                                     // 000000008D8C: 7E6C0328
	v_mov_b32_e32 v55, v41                                     // 000000008D90: 7E6E0329
	v_mul_f32_dpp v4, v24, v49 row_newbcast:0 row_mask:0xf bank_mask:0xf// 000000008D94: 0A0862FA FF015018
	v_mfma_f32_16x16x32_fp8_fp8 v[8:11], a[112:113], a[0:1], 0 // 000000008D9C: D3F30008 1A020170
	buffer_load_dword v27, v23, s[32:35], 0 offen              // 000000008DA4: E0501000 80081B17
	buffer_load_dwordx4 a[128:131], v70, s[84:87], 0 offen     // 000000008DAC: E05C1000 80958046
	v_mfma_f32_16x16x32_fp8_fp8 v[8:11], a[114:115], a[2:3], v[8:11]// 000000008DB4: D3F30008 1C220572
	v_mfma_f32_16x16x32_fp8_fp8 v[8:11], a[116:117], a[4:5], v[8:11]// 000000008DBC: D3F30008 1C220974
	v_mfma_f32_16x16x32_fp8_fp8 v[8:11], a[118:119], a[6:7], v[8:11]// 000000008DC4: D3F30008 1C220D76
	v_mul_f32_dpp v6, v24, v50 row_newbcast:0 row_mask:0xf bank_mask:0xf// 000000008DCC: 0A0C64FA FF015018
	v_mfma_f32_16x16x32_fp8_fp8 v[12:15], a[112:113], a[8:9], 0// 000000008DD4: D3F3000C 1A021170
	buffer_load_dwordx4 a[132:135], v70, s[84:87], 0 offen offset:1024// 000000008DDC: E05C1400 80958446
	v_mfma_f32_16x16x32_fp8_fp8 v[12:15], a[114:115], a[10:11], v[12:15]// 000000008DE4: D3F3000C 1C321572
	v_mfma_f32_16x16x32_fp8_fp8 v[12:15], a[116:117], a[12:13], v[12:15]// 000000008DEC: D3F3000C 1C321974
	v_mfma_f32_16x16x32_fp8_fp8 v[12:15], a[118:119], a[14:15], v[12:15]// 000000008DF4: D3F3000C 1C321D76
	v_fma_f32 v72, v8, v4, v72                                 // 000000008DFC: D1CB0048 05220908
	v_fma_f32 v73, v9, v4, v73                                 // 000000008E04: D1CB0049 05260909
	v_fma_f32 v74, v10, v4, v74                                // 000000008E0C: D1CB004A 052A090A
	v_fma_f32 v75, v11, v4, v75                                // 000000008E14: D1CB004B 052E090B
	v_mul_f32_dpp v4, v24, v51 row_newbcast:0 row_mask:0xf bank_mask:0xf// 000000008E1C: 0A0866FA FF015018
	v_mfma_f32_16x16x32_fp8_fp8 v[8:11], a[112:113], a[16:17], 0// 000000008E24: D3F30008 1A022170
	buffer_load_dwordx4 a[136:139], v71, s[84:87], 0 offen     // 000000008E2C: E05C1000 80958847
	v_mfma_f32_16x16x32_fp8_fp8 v[8:11], a[114:115], a[18:19], v[8:11]// 000000008E34: D3F30008 1C222572
	v_mfma_f32_16x16x32_fp8_fp8 v[8:11], a[116:117], a[20:21], v[8:11]// 000000008E3C: D3F30008 1C222974
	v_mfma_f32_16x16x32_fp8_fp8 v[8:11], a[118:119], a[22:23], v[8:11]// 000000008E44: D3F30008 1C222D76
	v_fma_f32 v76, v12, v6, v76                                // 000000008E4C: D1CB004C 05320D0C
	v_fma_f32 v77, v13, v6, v77                                // 000000008E54: D1CB004D 05360D0D
	v_fma_f32 v78, v14, v6, v78                                // 000000008E5C: D1CB004E 053A0D0E
	v_fma_f32 v79, v15, v6, v79                                // 000000008E64: D1CB004F 053E0D0F
	v_mul_f32_dpp v6, v24, v52 row_newbcast:0 row_mask:0xf bank_mask:0xf// 000000008E6C: 0A0C68FA FF015018
	v_mfma_f32_16x16x32_fp8_fp8 v[12:15], a[112:113], a[24:25], 0// 000000008E74: D3F3000C 1A023170
	buffer_load_dwordx4 a[140:143], v71, s[84:87], 0 offen offset:1024// 000000008E7C: E05C1400 80958C47
	buffer_load_dword v56, s[20:23], 0 offen lds               // 000000008E84: E0511000 80050038
	s_add_u32 m0, 0x100, s48                                   // 000000008E8C: 807C30FF 00000100
	v_mfma_f32_16x16x32_fp8_fp8 v[12:15], a[114:115], a[26:27], v[12:15]// 000000008E94: D3F3000C 1C323572
	v_mfma_f32_16x16x32_fp8_fp8 v[12:15], a[116:117], a[28:29], v[12:15]// 000000008E9C: D3F3000C 1C323974
	buffer_load_dword v57, s[20:23], 0 offen lds               // 000000008EA4: E0511000 80050039
	s_add_u32 m0, 0x200, s48                                   // 000000008EAC: 807C30FF 00000200
	v_mfma_f32_16x16x32_fp8_fp8 v[12:15], a[118:119], a[30:31], v[12:15]// 000000008EB4: D3F3000C 1C323D76
	v_fma_f32 v80, v8, v4, v80                                 // 000000008EBC: D1CB0050 05420908
	v_fma_f32 v81, v9, v4, v81                                 // 000000008EC4: D1CB0051 05460909
	v_fma_f32 v82, v10, v4, v82                                // 000000008ECC: D1CB0052 054A090A
	v_fma_f32 v83, v11, v4, v83                                // 000000008ED4: D1CB0053 054E090B
	v_mul_f32_dpp v4, v24, v53 row_newbcast:0 row_mask:0xf bank_mask:0xf// 000000008EDC: 0A086AFA FF015018
	v_mfma_f32_16x16x32_fp8_fp8 v[8:11], a[112:113], a[32:33], 0// 000000008EE4: D3F30008 1A024170
	buffer_load_dword v58, s[20:23], 0 offen lds               // 000000008EEC: E0511000 8005003A
	s_add_u32 m0, 0x300, s48                                   // 000000008EF4: 807C30FF 00000300
	v_mfma_f32_16x16x32_fp8_fp8 v[8:11], a[114:115], a[34:35], v[8:11]// 000000008EFC: D3F30008 1C224572
	v_mfma_f32_16x16x32_fp8_fp8 v[8:11], a[116:117], a[36:37], v[8:11]// 000000008F04: D3F30008 1C224974
	buffer_load_dword v59, s[20:23], 0 offen lds               // 000000008F0C: E0511000 8005003B
	s_add_u32 m0, 0x400, s48                                   // 000000008F14: 807C30FF 00000400
	v_mfma_f32_16x16x32_fp8_fp8 v[8:11], a[118:119], a[38:39], v[8:11]// 000000008F1C: D3F30008 1C224D76
	v_fma_f32 v84, v12, v6, v84                                // 000000008F24: D1CB0054 05520D0C
	v_fma_f32 v85, v13, v6, v85                                // 000000008F2C: D1CB0055 05560D0D
	v_fma_f32 v86, v14, v6, v86                                // 000000008F34: D1CB0056 055A0D0E
	v_fma_f32 v87, v15, v6, v87                                // 000000008F3C: D1CB0057 055E0D0F
	v_mul_f32_dpp v6, v24, v54 row_newbcast:0 row_mask:0xf bank_mask:0xf// 000000008F44: 0A0C6CFA FF015018
	v_mfma_f32_16x16x32_fp8_fp8 v[12:15], a[112:113], a[40:41], 0// 000000008F4C: D3F3000C 1A025170
	buffer_load_dword v60, s[20:23], 0 offen lds               // 000000008F54: E0511000 8005003C
	s_add_u32 m0, 0x500, s48                                   // 000000008F5C: 807C30FF 00000500
	v_mfma_f32_16x16x32_fp8_fp8 v[12:15], a[114:115], a[42:43], v[12:15]// 000000008F64: D3F3000C 1C325572
	v_mfma_f32_16x16x32_fp8_fp8 v[12:15], a[116:117], a[44:45], v[12:15]// 000000008F6C: D3F3000C 1C325974
	buffer_load_dword v61, s[20:23], 0 offen lds               // 000000008F74: E0511000 8005003D
	s_add_u32 m0, 0x600, s48                                   // 000000008F7C: 807C30FF 00000600
	v_mfma_f32_16x16x32_fp8_fp8 v[12:15], a[118:119], a[46:47], v[12:15]// 000000008F84: D3F3000C 1C325D76
	v_fma_f32 v88, v8, v4, v88                                 // 000000008F8C: D1CB0058 05620908
	v_fma_f32 v89, v9, v4, v89                                 // 000000008F94: D1CB0059 05660909
	v_fma_f32 v90, v10, v4, v90                                // 000000008F9C: D1CB005A 056A090A
	v_fma_f32 v91, v11, v4, v91                                // 000000008FA4: D1CB005B 056E090B
	v_mul_f32_dpp v4, v24, v55 row_newbcast:0 row_mask:0xf bank_mask:0xf// 000000008FAC: 0A086EFA FF015018
	v_mfma_f32_16x16x32_fp8_fp8 v[8:11], a[112:113], a[48:49], 0// 000000008FB4: D3F30008 1A026170
	buffer_load_dword v62, s[20:23], 0 offen lds               // 000000008FBC: E0511000 8005003E
	s_add_u32 m0, 0x700, s48                                   // 000000008FC4: 807C30FF 00000700
	v_mfma_f32_16x16x32_fp8_fp8 v[8:11], a[114:115], a[50:51], v[8:11]// 000000008FCC: D3F30008 1C226572
	v_mfma_f32_16x16x32_fp8_fp8 v[8:11], a[116:117], a[52:53], v[8:11]// 000000008FD4: D3F30008 1C226974
	buffer_load_dword v63, s[20:23], 0 offen lds               // 000000008FDC: E0511000 8005003F
	s_add_u32 m0, 0x800, s48                                   // 000000008FE4: 807C30FF 00000800
	v_mfma_f32_16x16x32_fp8_fp8 v[8:11], a[118:119], a[54:55], v[8:11]// 000000008FEC: D3F30008 1C226D76
	v_fma_f32 v92, v12, v6, v92                                // 000000008FF4: D1CB005C 05720D0C
	v_fma_f32 v93, v13, v6, v93                                // 000000008FFC: D1CB005D 05760D0D
	v_fma_f32 v94, v14, v6, v94                                // 000000009004: D1CB005E 057A0D0E
	v_fma_f32 v95, v15, v6, v95                                // 00000000900C: D1CB005F 057E0D0F
	s_waitcnt vmcnt(13)                                        // 000000009014: BF8C0F7D
	v_mul_f32_dpp v6, v24, v49 row_newbcast:0 row_mask:0xf bank_mask:0xf// 000000009018: 0A0C62FA FF015018
	v_mfma_f32_16x16x32_fp8_fp8 v[12:15], a[120:121], a[0:1], 0// 000000009020: D3F3000C 1A020178
	buffer_load_dword v64, s[20:23], 0 offen lds               // 000000009028: E0511000 80050040
	s_add_u32 m0, 0x900, s48                                   // 000000009030: 807C30FF 00000900
	v_mfma_f32_16x16x32_fp8_fp8 v[12:15], a[122:123], a[2:3], v[12:15]// 000000009038: D3F3000C 1C32057A
	v_mfma_f32_16x16x32_fp8_fp8 v[12:15], a[124:125], a[4:5], v[12:15]// 000000009040: D3F3000C 1C32097C
	buffer_load_dword v65, s[20:23], 0 offen lds               // 000000009048: E0511000 80050041
	s_add_u32 m0, 0xa00, s48                                   // 000000009050: 807C30FF 00000A00
	v_mfma_f32_16x16x32_fp8_fp8 v[12:15], a[126:127], a[6:7], v[12:15]// 000000009058: D3F3000C 1C320D7E
	v_fma_f32 v96, v8, v4, v96                                 // 000000009060: D1CB0060 05820908
	v_fma_f32 v97, v9, v4, v97                                 // 000000009068: D1CB0061 05860909
	v_fma_f32 v98, v10, v4, v98                                // 000000009070: D1CB0062 058A090A
	v_fma_f32 v99, v11, v4, v99                                // 000000009078: D1CB0063 058E090B
	v_mul_f32_dpp v4, v24, v50 row_newbcast:0 row_mask:0xf bank_mask:0xf// 000000009080: 0A0864FA FF015018
	v_mfma_f32_16x16x32_fp8_fp8 v[8:11], a[120:121], a[8:9], 0 // 000000009088: D3F30008 1A021178
	buffer_load_dword v66, s[20:23], 0 offen lds               // 000000009090: E0511000 80050042
	s_add_u32 m0, 0xb00, s48                                   // 000000009098: 807C30FF 00000B00
	v_mfma_f32_16x16x32_fp8_fp8 v[8:11], a[122:123], a[10:11], v[8:11]// 0000000090A0: D3F30008 1C22157A
	v_mfma_f32_16x16x32_fp8_fp8 v[8:11], a[124:125], a[12:13], v[8:11]// 0000000090A8: D3F30008 1C22197C
	buffer_load_dword v67, s[20:23], 0 offen lds               // 0000000090B0: E0511000 80050043
	s_add_u32 m0, 0xc00, s48                                   // 0000000090B8: 807C30FF 00000C00
	v_mfma_f32_16x16x32_fp8_fp8 v[8:11], a[126:127], a[14:15], v[8:11]// 0000000090C0: D3F30008 1C221D7E
	v_fma_f32 v100, v12, v6, v100                              // 0000000090C8: D1CB0064 05920D0C
	v_fma_f32 v101, v13, v6, v101                              // 0000000090D0: D1CB0065 05960D0D
	v_fma_f32 v102, v14, v6, v102                              // 0000000090D8: D1CB0066 059A0D0E
	v_fma_f32 v103, v15, v6, v103                              // 0000000090E0: D1CB0067 059E0D0F
	v_mul_f32_dpp v6, v24, v51 row_newbcast:0 row_mask:0xf bank_mask:0xf// 0000000090E8: 0A0C66FA FF015018
	v_mfma_f32_16x16x32_fp8_fp8 v[12:15], a[120:121], a[16:17], 0// 0000000090F0: D3F3000C 1A022178
	buffer_load_dword v68, s[20:23], 0 offen lds               // 0000000090F8: E0511000 80050044
	s_add_u32 m0, 0xd00, s48                                   // 000000009100: 807C30FF 00000D00
	v_mfma_f32_16x16x32_fp8_fp8 v[12:15], a[122:123], a[18:19], v[12:15]// 000000009108: D3F3000C 1C32257A
	v_mfma_f32_16x16x32_fp8_fp8 v[12:15], a[124:125], a[20:21], v[12:15]// 000000009110: D3F3000C 1C32297C
	buffer_load_dword v69, s[20:23], 0 offen lds               // 000000009118: E0511000 80050045
	s_add_u32 m0, 0, s49                                       // 000000009120: 807C3180
	v_mfma_f32_16x16x32_fp8_fp8 v[12:15], a[126:127], a[22:23], v[12:15]// 000000009124: D3F3000C 1C322D7E
	v_fma_f32 v104, v8, v4, v104                               // 00000000912C: D1CB0068 05A20908
	v_fma_f32 v105, v9, v4, v105                               // 000000009134: D1CB0069 05A60909
	v_fma_f32 v106, v10, v4, v106                              // 00000000913C: D1CB006A 05AA090A
	v_fma_f32 v107, v11, v4, v107                              // 000000009144: D1CB006B 05AE090B
	v_mul_f32_dpp v4, v24, v52 row_newbcast:0 row_mask:0xf bank_mask:0xf// 00000000914C: 0A0868FA FF015018
	v_mfma_f32_16x16x32_fp8_fp8 v[8:11], a[120:121], a[24:25], 0// 000000009154: D3F30008 1A023178
	buffer_load_dword v35, v28, s[28:31], 0 offen              // 00000000915C: E0501000 8007231C
	v_mfma_f32_16x16x32_fp8_fp8 v[8:11], a[122:123], a[26:27], v[8:11]// 000000009164: D3F30008 1C22357A
	v_mfma_f32_16x16x32_fp8_fp8 v[8:11], a[124:125], a[28:29], v[8:11]// 00000000916C: D3F30008 1C22397C
	buffer_load_dword v36, v29, s[28:31], 0 offen              // 000000009174: E0501000 8007241D
	v_mfma_f32_16x16x32_fp8_fp8 v[8:11], a[126:127], a[30:31], v[8:11]// 00000000917C: D3F30008 1C223D7E
	v_fma_f32 v108, v12, v6, v108                              // 000000009184: D1CB006C 05B20D0C
	v_fma_f32 v109, v13, v6, v109                              // 00000000918C: D1CB006D 05B60D0D
	v_fma_f32 v110, v14, v6, v110                              // 000000009194: D1CB006E 05BA0D0E
	v_fma_f32 v111, v15, v6, v111                              // 00000000919C: D1CB006F 05BE0D0F
	v_mul_f32_dpp v6, v24, v53 row_newbcast:0 row_mask:0xf bank_mask:0xf// 0000000091A4: 0A0C6AFA FF015018
	v_mfma_f32_16x16x32_fp8_fp8 v[12:15], a[120:121], a[32:33], 0// 0000000091AC: D3F3000C 1A024178
	buffer_load_dword v37, v30, s[28:31], 0 offen              // 0000000091B4: E0501000 8007251E
	v_mfma_f32_16x16x32_fp8_fp8 v[12:15], a[122:123], a[34:35], v[12:15]// 0000000091BC: D3F3000C 1C32457A
	v_mfma_f32_16x16x32_fp8_fp8 v[12:15], a[124:125], a[36:37], v[12:15]// 0000000091C4: D3F3000C 1C32497C
	buffer_load_dword v38, v31, s[28:31], 0 offen              // 0000000091CC: E0501000 8007261F
	v_mfma_f32_16x16x32_fp8_fp8 v[12:15], a[126:127], a[38:39], v[12:15]// 0000000091D4: D3F3000C 1C324D7E
	v_fma_f32 v112, v8, v4, v112                               // 0000000091DC: D1CB0070 05C20908
	v_fma_f32 v113, v9, v4, v113                               // 0000000091E4: D1CB0071 05C60909
	v_fma_f32 v114, v10, v4, v114                              // 0000000091EC: D1CB0072 05CA090A
	v_fma_f32 v115, v11, v4, v115                              // 0000000091F4: D1CB0073 05CE090B
	v_mul_f32_dpp v4, v24, v54 row_newbcast:0 row_mask:0xf bank_mask:0xf// 0000000091FC: 0A086CFA FF015018
	v_mfma_f32_16x16x32_fp8_fp8 v[8:11], a[120:121], a[40:41], 0// 000000009204: D3F30008 1A025178
	buffer_load_dword v39, v32, s[28:31], 0 offen              // 00000000920C: E0501000 80072720
	v_mfma_f32_16x16x32_fp8_fp8 v[8:11], a[122:123], a[42:43], v[8:11]// 000000009214: D3F30008 1C22557A
	v_mfma_f32_16x16x32_fp8_fp8 v[8:11], a[124:125], a[44:45], v[8:11]// 00000000921C: D3F30008 1C22597C
	buffer_load_dword v40, v33, s[28:31], 0 offen              // 000000009224: E0501000 80072821
	v_mfma_f32_16x16x32_fp8_fp8 v[8:11], a[126:127], a[46:47], v[8:11]// 00000000922C: D3F30008 1C225D7E
	v_fma_f32 v116, v12, v6, v116                              // 000000009234: D1CB0074 05D20D0C
	v_fma_f32 v117, v13, v6, v117                              // 00000000923C: D1CB0075 05D60D0D
	v_fma_f32 v118, v14, v6, v118                              // 000000009244: D1CB0076 05DA0D0E
	v_fma_f32 v119, v15, v6, v119                              // 00000000924C: D1CB0077 05DE0D0F
	v_mul_f32_dpp v6, v24, v55 row_newbcast:0 row_mask:0xf bank_mask:0xf// 000000009254: 0A0C6EFA FF015018
	v_mfma_f32_16x16x32_fp8_fp8 v[12:15], a[120:121], a[48:49], 0// 00000000925C: D3F3000C 1A026178
	buffer_load_dword v41, v34, s[28:31], 0 offen              // 000000009264: E0501000 80072922
	v_mfma_f32_16x16x32_fp8_fp8 v[12:15], a[122:123], a[50:51], v[12:15]// 00000000926C: D3F3000C 1C32657A
	s_add_u32 s60, 0x80, s80                                   // 000000009274: 803C50FF 00000080
	s_cmp_lt_u32 s60, s81                                      // 00000000927C: BF0A513C
	s_cselect_b32 s83, s83, 0                                  // 000000009280: 85538053
	s_cselect_b32 s4, s4, 0                                    // 000000009284: 85048004
	v_mfma_f32_16x16x32_fp8_fp8 v[12:15], a[124:125], a[52:53], v[12:15]// 000000009288: D3F3000C 1C32697C
	s_add_u32 s32, s4, s32                                     // 000000009290: 80202004
	s_addc_u32 s33, 0, s33                                     // 000000009294: 82212180
	v_mfma_f32_16x16x32_fp8_fp8 v[12:15], a[126:127], a[54:55], v[12:15]// 000000009298: D3F3000C 1C326D7E
	v_fma_f32 v120, v8, v4, v120                               // 0000000092A0: D1CB0078 05E20908
	v_fma_f32 v121, v9, v4, v121                               // 0000000092A8: D1CB0079 05E60909
	v_fma_f32 v122, v10, v4, v122                              // 0000000092B0: D1CB007A 05EA090A
	v_fma_f32 v123, v11, v4, v123                              // 0000000092B8: D1CB007B 05EE090B
	v_fma_f32 v124, v12, v6, v124                              // 0000000092C0: D1CB007C 05F20D0C
	v_fma_f32 v125, v13, v6, v125                              // 0000000092C8: D1CB007D 05F60D0D
	v_fma_f32 v126, v14, v6, v126                              // 0000000092D0: D1CB007E 05FA0D0E
	v_fma_f32 v127, v15, v6, v127                              // 0000000092D8: D1CB007F 05FE0D0F
	s_waitcnt vmcnt(21)                                        // 0000000092E0: BF8C4F75
	v_mul_f32_dpp v4, v27, v49 row_newbcast:0 row_mask:0xf bank_mask:0xf// 0000000092E4: 0A0862FA FF01501B
	v_mfma_f32_16x16x32_fp8_fp8 v[8:11], a[128:129], a[0:1], 0 // 0000000092EC: D3F30008 1A020180
	buffer_load_dword v24, v22, s[32:35], 0 offen              // 0000000092F4: E0501000 80081816
	buffer_load_dwordx4 a[112:115], v70, s[24:27], 0 offen     // 0000000092FC: E05C1000 80867046
	v_mfma_f32_16x16x32_fp8_fp8 v[8:11], a[130:131], a[2:3], v[8:11]// 000000009304: D3F30008 1C220582
	v_mfma_f32_16x16x32_fp8_fp8 v[8:11], a[132:133], a[4:5], v[8:11]// 00000000930C: D3F30008 1C220984
	ds_read_b128 a[56:59], v2 offset:14464                     // 000000009314: DBFE3880 38000002
	ds_read_b128 a[60:63], v2 offset:14528                     // 00000000931C: DBFE38C0 3C000002
	v_mfma_f32_16x16x32_fp8_fp8 v[8:11], a[134:135], a[6:7], v[8:11]// 000000009324: D3F30008 1C220D86
	v_mfma_f32_16x16x32_fp8_fp8 v[12:15], a[136:137], a[0:1], 0// 00000000932C: D3F3000C 1A020188
	buffer_load_dwordx4 a[116:119], v70, s[24:27], 0 offen offset:1024// 000000009334: E05C1400 80867446
	v_mfma_f32_16x16x32_fp8_fp8 v[12:15], a[138:139], a[2:3], v[12:15]// 00000000933C: D3F3000C 1C32058A
	v_mfma_f32_16x16x32_fp8_fp8 v[12:15], a[140:141], a[4:5], v[12:15]// 000000009344: D3F3000C 1C32098C
	ds_read_b128 a[64:67], v2 offset:14976                     // 00000000934C: DBFE3A80 40000002
	ds_read_b128 a[68:71], v2 offset:15040                     // 000000009354: DBFE3AC0 44000002
	v_mfma_f32_16x16x32_fp8_fp8 v[12:15], a[142:143], a[6:7], v[12:15]// 00000000935C: D3F3000C 1C320D8E
	v_fma_f32 v128, v8, v4, v128                               // 000000009364: D1CB0080 06020908
	v_fma_f32 v129, v9, v4, v129                               // 00000000936C: D1CB0081 06060909
	v_fma_f32 v130, v10, v4, v130                              // 000000009374: D1CB0082 060A090A
	v_fma_f32 v131, v11, v4, v131                              // 00000000937C: D1CB0083 060E090B
	v_mul_f32_dpp v6, v27, v50 row_newbcast:0 row_mask:0xf bank_mask:0xf// 000000009384: 0A0C64FA FF01501B
	v_mfma_f32_16x16x32_fp8_fp8 v[8:11], a[128:129], a[8:9], 0 // 00000000938C: D3F30008 1A021180
	buffer_load_dwordx4 a[120:123], v71, s[24:27], 0 offen     // 000000009394: E05C1000 80867847
	v_mfma_f32_16x16x32_fp8_fp8 v[8:11], a[130:131], a[10:11], v[8:11]// 00000000939C: D3F30008 1C221582
	v_mfma_f32_16x16x32_fp8_fp8 v[8:11], a[132:133], a[12:13], v[8:11]// 0000000093A4: D3F30008 1C221984
	ds_read_b128 a[72:75], v2 offset:15488                     // 0000000093AC: DBFE3C80 48000002
	ds_read_b128 a[76:79], v2 offset:15552                     // 0000000093B4: DBFE3CC0 4C000002
	v_mfma_f32_16x16x32_fp8_fp8 v[8:11], a[134:135], a[14:15], v[8:11]// 0000000093BC: D3F30008 1C221D86
	v_fma_f32 v156, v12, v4, v156                              // 0000000093C4: D1CB009C 0672090C
	v_fma_f32 v157, v13, v4, v157                              // 0000000093CC: D1CB009D 0676090D
	v_fma_f32 v158, v14, v4, v158                              // 0000000093D4: D1CB009E 067A090E
	v_fma_f32 v159, v15, v4, v159                              // 0000000093DC: D1CB009F 067E090F
	v_mfma_f32_16x16x32_fp8_fp8 v[12:15], a[136:137], a[8:9], 0// 0000000093E4: D3F3000C 1A021188
	buffer_load_dwordx4 a[124:127], v71, s[24:27], 0 offen offset:1024// 0000000093EC: E05C1400 80867C47
	v_mfma_f32_16x16x32_fp8_fp8 v[12:15], a[138:139], a[10:11], v[12:15]// 0000000093F4: D3F3000C 1C32158A
	v_mfma_f32_16x16x32_fp8_fp8 v[12:15], a[140:141], a[12:13], v[12:15]// 0000000093FC: D3F3000C 1C32198C
	ds_read_b128 a[80:83], v2 offset:16000                     // 000000009404: DBFE3E80 50000002
	ds_read_b128 a[84:87], v2 offset:16064                     // 00000000940C: DBFE3EC0 54000002
	v_mfma_f32_16x16x32_fp8_fp8 v[12:15], a[142:143], a[14:15], v[12:15]// 000000009414: D3F3000C 1C321D8E
	v_fma_f32 v132, v8, v6, v132                               // 00000000941C: D1CB0084 06120D08
	v_fma_f32 v133, v9, v6, v133                               // 000000009424: D1CB0085 06160D09
	v_fma_f32 v134, v10, v6, v134                              // 00000000942C: D1CB0086 061A0D0A
	v_fma_f32 v135, v11, v6, v135                              // 000000009434: D1CB0087 061E0D0B
	v_mul_f32_dpp v4, v27, v51 row_newbcast:0 row_mask:0xf bank_mask:0xf// 00000000943C: 0A0866FA FF01501B
	v_mfma_f32_16x16x32_fp8_fp8 v[8:11], a[128:129], a[16:17], 0// 000000009444: D3F30008 1A022180
	v_mfma_f32_16x16x32_fp8_fp8 v[8:11], a[130:131], a[18:19], v[8:11]// 00000000944C: D3F30008 1C222582
	v_mfma_f32_16x16x32_fp8_fp8 v[8:11], a[132:133], a[20:21], v[8:11]// 000000009454: D3F30008 1C222984
	ds_read_b128 a[88:91], v2 offset:16512                     // 00000000945C: DBFE4080 58000002
	ds_read_b128 a[92:95], v2 offset:16576                     // 000000009464: DBFE40C0 5C000002
	v_mfma_f32_16x16x32_fp8_fp8 v[8:11], a[134:135], a[22:23], v[8:11]// 00000000946C: D3F30008 1C222D86
	v_fma_f32 v160, v12, v6, v160                              // 000000009474: D1CB00A0 06820D0C
	v_fma_f32 v161, v13, v6, v161                              // 00000000947C: D1CB00A1 06860D0D
	v_fma_f32 v162, v14, v6, v162                              // 000000009484: D1CB00A2 068A0D0E
	v_fma_f32 v163, v15, v6, v163                              // 00000000948C: D1CB00A3 068E0D0F
	v_mfma_f32_16x16x32_fp8_fp8 v[12:15], a[136:137], a[16:17], 0// 000000009494: D3F3000C 1A022188
	v_mfma_f32_16x16x32_fp8_fp8 v[12:15], a[138:139], a[18:19], v[12:15]// 00000000949C: D3F3000C 1C32258A
	v_mfma_f32_16x16x32_fp8_fp8 v[12:15], a[140:141], a[20:21], v[12:15]// 0000000094A4: D3F3000C 1C32298C
	ds_read_b128 a[96:99], v2 offset:17024                     // 0000000094AC: DBFE4280 60000002
	ds_read_b128 a[100:103], v2 offset:17088                   // 0000000094B4: DBFE42C0 64000002
	v_mfma_f32_16x16x32_fp8_fp8 v[12:15], a[142:143], a[22:23], v[12:15]// 0000000094BC: D3F3000C 1C322D8E
	v_fma_f32 v136, v8, v4, v136                               // 0000000094C4: D1CB0088 06220908
	v_fma_f32 v137, v9, v4, v137                               // 0000000094CC: D1CB0089 06260909
	v_fma_f32 v138, v10, v4, v138                              // 0000000094D4: D1CB008A 062A090A
	v_fma_f32 v139, v11, v4, v139                              // 0000000094DC: D1CB008B 062E090B
	v_mul_f32_dpp v6, v27, v52 row_newbcast:0 row_mask:0xf bank_mask:0xf// 0000000094E4: 0A0C68FA FF01501B
	v_mfma_f32_16x16x32_fp8_fp8 v[8:11], a[128:129], a[24:25], 0// 0000000094EC: D3F30008 1A023180
	v_mfma_f32_16x16x32_fp8_fp8 v[8:11], a[130:131], a[26:27], v[8:11]// 0000000094F4: D3F30008 1C223582
	v_mfma_f32_16x16x32_fp8_fp8 v[8:11], a[132:133], a[28:29], v[8:11]// 0000000094FC: D3F30008 1C223984
	ds_read_b128 a[104:107], v2 offset:17536                   // 000000009504: DBFE4480 68000002
	ds_read_b128 a[108:111], v2 offset:17600                   // 00000000950C: DBFE44C0 6C000002
	v_mfma_f32_16x16x32_fp8_fp8 v[8:11], a[134:135], a[30:31], v[8:11]// 000000009514: D3F30008 1C223D86
	v_fma_f32 v164, v12, v4, v164                              // 00000000951C: D1CB00A4 0692090C
	v_fma_f32 v165, v13, v4, v165                              // 000000009524: D1CB00A5 0696090D
	v_fma_f32 v166, v14, v4, v166                              // 00000000952C: D1CB00A6 069A090E
	v_fma_f32 v167, v15, v4, v167                              // 000000009534: D1CB00A7 069E090F
	v_mfma_f32_16x16x32_fp8_fp8 v[12:15], a[136:137], a[24:25], 0// 00000000953C: D3F3000C 1A023188
	v_mfma_f32_16x16x32_fp8_fp8 v[12:15], a[138:139], a[26:27], v[12:15]// 000000009544: D3F3000C 1C32358A
	v_mfma_f32_16x16x32_fp8_fp8 v[12:15], a[140:141], a[28:29], v[12:15]// 00000000954C: D3F3000C 1C32398C
	v_mfma_f32_16x16x32_fp8_fp8 v[12:15], a[142:143], a[30:31], v[12:15]// 000000009554: D3F3000C 1C323D8E
	v_fma_f32 v140, v8, v6, v140                               // 00000000955C: D1CB008C 06320D08
	v_fma_f32 v141, v9, v6, v141                               // 000000009564: D1CB008D 06360D09
	v_fma_f32 v142, v10, v6, v142                              // 00000000956C: D1CB008E 063A0D0A
	v_fma_f32 v143, v11, v6, v143                              // 000000009574: D1CB008F 063E0D0B
	v_mul_f32_dpp v4, v27, v53 row_newbcast:0 row_mask:0xf bank_mask:0xf// 00000000957C: 0A086AFA FF01501B
	v_mfma_f32_16x16x32_fp8_fp8 v[8:11], a[128:129], a[32:33], 0// 000000009584: D3F30008 1A024180
	v_mfma_f32_16x16x32_fp8_fp8 v[8:11], a[130:131], a[34:35], v[8:11]// 00000000958C: D3F30008 1C224582
	v_mfma_f32_16x16x32_fp8_fp8 v[8:11], a[132:133], a[36:37], v[8:11]// 000000009594: D3F30008 1C224984
	v_mfma_f32_16x16x32_fp8_fp8 v[8:11], a[134:135], a[38:39], v[8:11]// 00000000959C: D3F30008 1C224D86
	v_fma_f32 v168, v12, v6, v168                              // 0000000095A4: D1CB00A8 06A20D0C
	v_fma_f32 v169, v13, v6, v169                              // 0000000095AC: D1CB00A9 06A60D0D
	v_fma_f32 v170, v14, v6, v170                              // 0000000095B4: D1CB00AA 06AA0D0E
	v_fma_f32 v171, v15, v6, v171                              // 0000000095BC: D1CB00AB 06AE0D0F
	v_mfma_f32_16x16x32_fp8_fp8 v[12:15], a[136:137], a[32:33], 0// 0000000095C4: D3F3000C 1A024188
	v_mfma_f32_16x16x32_fp8_fp8 v[12:15], a[138:139], a[34:35], v[12:15]// 0000000095CC: D3F3000C 1C32458A
	v_mfma_f32_16x16x32_fp8_fp8 v[12:15], a[140:141], a[36:37], v[12:15]// 0000000095D4: D3F3000C 1C32498C
	v_mfma_f32_16x16x32_fp8_fp8 v[12:15], a[142:143], a[38:39], v[12:15]// 0000000095DC: D3F3000C 1C324D8E
	v_fma_f32 v144, v8, v4, v144                               // 0000000095E4: D1CB0090 06420908
	v_fma_f32 v145, v9, v4, v145                               // 0000000095EC: D1CB0091 06460909
	v_fma_f32 v146, v10, v4, v146                              // 0000000095F4: D1CB0092 064A090A
	v_fma_f32 v147, v11, v4, v147                              // 0000000095FC: D1CB0093 064E090B
	v_mul_f32_dpp v6, v27, v54 row_newbcast:0 row_mask:0xf bank_mask:0xf// 000000009604: 0A0C6CFA FF01501B
	v_mfma_f32_16x16x32_fp8_fp8 v[8:11], a[128:129], a[40:41], 0// 00000000960C: D3F30008 1A025180
	v_mfma_f32_16x16x32_fp8_fp8 v[8:11], a[130:131], a[42:43], v[8:11]// 000000009614: D3F30008 1C225582
	v_mfma_f32_16x16x32_fp8_fp8 v[8:11], a[132:133], a[44:45], v[8:11]// 00000000961C: D3F30008 1C225984
	v_mfma_f32_16x16x32_fp8_fp8 v[8:11], a[134:135], a[46:47], v[8:11]// 000000009624: D3F30008 1C225D86
	v_fma_f32 v172, v12, v4, v172                              // 00000000962C: D1CB00AC 06B2090C
	v_fma_f32 v173, v13, v4, v173                              // 000000009634: D1CB00AD 06B6090D
	v_fma_f32 v174, v14, v4, v174                              // 00000000963C: D1CB00AE 06BA090E
	v_fma_f32 v175, v15, v4, v175                              // 000000009644: D1CB00AF 06BE090F
	v_mfma_f32_16x16x32_fp8_fp8 v[12:15], a[136:137], a[40:41], 0// 00000000964C: D3F3000C 1A025188
	v_mfma_f32_16x16x32_fp8_fp8 v[12:15], a[138:139], a[42:43], v[12:15]// 000000009654: D3F3000C 1C32558A
	v_mfma_f32_16x16x32_fp8_fp8 v[12:15], a[140:141], a[44:45], v[12:15]// 00000000965C: D3F3000C 1C32598C
	v_mfma_f32_16x16x32_fp8_fp8 v[12:15], a[142:143], a[46:47], v[12:15]// 000000009664: D3F3000C 1C325D8E
	v_fma_f32 v148, v8, v6, v148                               // 00000000966C: D1CB0094 06520D08
	v_fma_f32 v149, v9, v6, v149                               // 000000009674: D1CB0095 06560D09
	v_fma_f32 v150, v10, v6, v150                              // 00000000967C: D1CB0096 065A0D0A
	v_fma_f32 v151, v11, v6, v151                              // 000000009684: D1CB0097 065E0D0B
	v_mul_f32_dpp v4, v27, v55 row_newbcast:0 row_mask:0xf bank_mask:0xf// 00000000968C: 0A086EFA FF01501B
	v_mfma_f32_16x16x32_fp8_fp8 v[8:11], a[128:129], a[48:49], 0// 000000009694: D3F30008 1A026180
	v_mfma_f32_16x16x32_fp8_fp8 v[8:11], a[130:131], a[50:51], v[8:11]// 00000000969C: D3F30008 1C226582
	v_mfma_f32_16x16x32_fp8_fp8 v[8:11], a[132:133], a[52:53], v[8:11]// 0000000096A4: D3F30008 1C226984
	s_add_u32 s60, 0x180, s80                                  // 0000000096AC: 803C50FF 00000180
	s_cmp_lt_u32 s60, s81                                      // 0000000096B4: BF0A513C
	s_cselect_b32 s57, s57, 0                                  // 0000000096B8: 85398039
	s_cselect_b32 s3, s3, 0                                    // 0000000096BC: 85038003
	v_mfma_f32_16x16x32_fp8_fp8 v[8:11], a[134:135], a[54:55], v[8:11]// 0000000096C0: D3F30008 1C226D86
	s_add_u32 s60, 0x100, s80                                  // 0000000096C8: 803C50FF 00000100
	s_cmp_lt_u32 s60, s81                                      // 0000000096D0: BF0A513C
	s_cselect_b32 s58, s58, 0                                  // 0000000096D4: 853A803A
	v_fma_f32 v176, v12, v6, v176                              // 0000000096D8: D1CB00B0 06C20D0C
	v_fma_f32 v177, v13, v6, v177                              // 0000000096E0: D1CB00B1 06C60D0D
	v_fma_f32 v178, v14, v6, v178                              // 0000000096E8: D1CB00B2 06CA0D0E
	v_fma_f32 v179, v15, v6, v179                              // 0000000096F0: D1CB00B3 06CE0D0F
	v_mfma_f32_16x16x32_fp8_fp8 v[12:15], a[136:137], a[48:49], 0// 0000000096F8: D3F3000C 1A026188
	s_add_u32 s24, s58, s24                                    // 000000009700: 8018183A
	s_addc_u32 s25, 0, s25                                     // 000000009704: 82191980
	v_mfma_f32_16x16x32_fp8_fp8 v[12:15], a[138:139], a[50:51], v[12:15]// 000000009708: D3F3000C 1C32658A
	s_add_u32 s20, s57, s20                                    // 000000009710: 80141439
	s_addc_u32 s21, 0, s21                                     // 000000009714: 82151580
	s_add_u32 s28, s3, s28                                     // 000000009718: 801C1C03
	s_addc_u32 s29, 0, s29                                     // 00000000971C: 821D1D80
	v_mfma_f32_16x16x32_fp8_fp8 v[12:15], a[140:141], a[52:53], v[12:15]// 000000009720: D3F3000C 1C32698C
	s_add_u32 s84, s83, s84                                    // 000000009728: 80545453
	s_addc_u32 s85, 0, s85                                     // 00000000972C: 82555580
	v_mfma_f32_16x16x32_fp8_fp8 v[12:15], a[142:143], a[54:55], v[12:15]// 000000009730: D3F3000C 1C326D8E
	v_fma_f32 v152, v8, v4, v152                               // 000000009738: D1CB0098 06620908
	v_fma_f32 v153, v9, v4, v153                               // 000000009740: D1CB0099 06660909
	v_fma_f32 v154, v10, v4, v154                              // 000000009748: D1CB009A 066A090A
	v_fma_f32 v155, v11, v4, v155                              // 000000009750: D1CB009B 066E090B
	v_fma_f32 v180, v12, v4, v180                              // 000000009758: D1CB00B4 06D2090C
	v_fma_f32 v181, v13, v4, v181                              // 000000009760: D1CB00B5 06D6090D
	v_fma_f32 v182, v14, v4, v182                              // 000000009768: D1CB00B6 06DA090E
	v_fma_f32 v183, v15, v4, v183                              // 000000009770: D1CB00B7 06DE090F
	s_addk_i32 s80, 0x80                                       // 000000009778: B7500080
	s_cmp_lt_i32 s80, s81                                      // 00000000977C: BF045150
	s_cbranch_scc0 label_1DEA                                  // 000000009780: BF840286
	s_waitcnt vmcnt(2) lgkmcnt(0)                              // 000000009784: BF8C0072
	s_barrier                                                  // 000000009788: BF8A0000
	v_mov_b32_e32 v49, v42                                     // 00000000978C: 7E62032A
	v_mov_b32_e32 v50, v43                                     // 000000009790: 7E64032B
	v_mov_b32_e32 v51, v44                                     // 000000009794: 7E66032C
	v_mov_b32_e32 v52, v45                                     // 000000009798: 7E68032D
	v_mov_b32_e32 v53, v46                                     // 00000000979C: 7E6A032E
	v_mov_b32_e32 v54, v47                                     // 0000000097A0: 7E6C032F
	v_mov_b32_e32 v55, v48                                     // 0000000097A4: 7E6E0330
	v_mul_f32_dpp v4, v24, v49 row_newbcast:0 row_mask:0xf bank_mask:0xf// 0000000097A8: 0A0862FA FF015018
	v_mfma_f32_16x16x32_fp8_fp8 v[8:11], a[112:113], a[56:57], 0// 0000000097B0: D3F30008 1A027170
	buffer_load_dword v27, v23, s[32:35], 0 offen              // 0000000097B8: E0501000 80081B17
	buffer_load_dwordx4 a[128:131], v70, s[84:87], 0 offen     // 0000000097C0: E05C1000 80958046
	v_mfma_f32_16x16x32_fp8_fp8 v[8:11], a[114:115], a[58:59], v[8:11]// 0000000097C8: D3F30008 1C227572
	v_mfma_f32_16x16x32_fp8_fp8 v[8:11], a[116:117], a[60:61], v[8:11]// 0000000097D0: D3F30008 1C227974
	v_mfma_f32_16x16x32_fp8_fp8 v[8:11], a[118:119], a[62:63], v[8:11]// 0000000097D8: D3F30008 1C227D76
	v_mul_f32_dpp v6, v24, v50 row_newbcast:0 row_mask:0xf bank_mask:0xf// 0000000097E0: 0A0C64FA FF015018
	v_mfma_f32_16x16x32_fp8_fp8 v[12:15], a[112:113], a[64:65], 0// 0000000097E8: D3F3000C 1A028170
	buffer_load_dwordx4 a[132:135], v70, s[84:87], 0 offen offset:1024// 0000000097F0: E05C1400 80958446
	v_mfma_f32_16x16x32_fp8_fp8 v[12:15], a[114:115], a[66:67], v[12:15]// 0000000097F8: D3F3000C 1C328572
	v_mfma_f32_16x16x32_fp8_fp8 v[12:15], a[116:117], a[68:69], v[12:15]// 000000009800: D3F3000C 1C328974
	v_mfma_f32_16x16x32_fp8_fp8 v[12:15], a[118:119], a[70:71], v[12:15]// 000000009808: D3F3000C 1C328D76
	v_fma_f32 v72, v8, v4, v72                                 // 000000009810: D1CB0048 05220908
	v_fma_f32 v73, v9, v4, v73                                 // 000000009818: D1CB0049 05260909
	v_fma_f32 v74, v10, v4, v74                                // 000000009820: D1CB004A 052A090A
	v_fma_f32 v75, v11, v4, v75                                // 000000009828: D1CB004B 052E090B
	v_mul_f32_dpp v4, v24, v51 row_newbcast:0 row_mask:0xf bank_mask:0xf// 000000009830: 0A0866FA FF015018
	v_mfma_f32_16x16x32_fp8_fp8 v[8:11], a[112:113], a[72:73], 0// 000000009838: D3F30008 1A029170
	buffer_load_dwordx4 a[136:139], v71, s[84:87], 0 offen     // 000000009840: E05C1000 80958847
	v_mfma_f32_16x16x32_fp8_fp8 v[8:11], a[114:115], a[74:75], v[8:11]// 000000009848: D3F30008 1C229572
	v_mfma_f32_16x16x32_fp8_fp8 v[8:11], a[116:117], a[76:77], v[8:11]// 000000009850: D3F30008 1C229974
	v_mfma_f32_16x16x32_fp8_fp8 v[8:11], a[118:119], a[78:79], v[8:11]// 000000009858: D3F30008 1C229D76
	v_fma_f32 v76, v12, v6, v76                                // 000000009860: D1CB004C 05320D0C
	v_fma_f32 v77, v13, v6, v77                                // 000000009868: D1CB004D 05360D0D
	v_fma_f32 v78, v14, v6, v78                                // 000000009870: D1CB004E 053A0D0E
	v_fma_f32 v79, v15, v6, v79                                // 000000009878: D1CB004F 053E0D0F
	v_mul_f32_dpp v6, v24, v52 row_newbcast:0 row_mask:0xf bank_mask:0xf// 000000009880: 0A0C68FA FF015018
	v_mfma_f32_16x16x32_fp8_fp8 v[12:15], a[112:113], a[80:81], 0// 000000009888: D3F3000C 1A02A170
	buffer_load_dwordx4 a[140:143], v71, s[84:87], 0 offen offset:1024// 000000009890: E05C1400 80958C47
	buffer_load_dword v56, s[20:23], 0 offen lds               // 000000009898: E0511000 80050038
	s_add_u32 m0, 0x100, s49                                   // 0000000098A0: 807C31FF 00000100
	v_mfma_f32_16x16x32_fp8_fp8 v[12:15], a[114:115], a[82:83], v[12:15]// 0000000098A8: D3F3000C 1C32A572
	v_mfma_f32_16x16x32_fp8_fp8 v[12:15], a[116:117], a[84:85], v[12:15]// 0000000098B0: D3F3000C 1C32A974
	buffer_load_dword v57, s[20:23], 0 offen lds               // 0000000098B8: E0511000 80050039
	s_add_u32 m0, 0x200, s49                                   // 0000000098C0: 807C31FF 00000200
	v_mfma_f32_16x16x32_fp8_fp8 v[12:15], a[118:119], a[86:87], v[12:15]// 0000000098C8: D3F3000C 1C32AD76
	v_fma_f32 v80, v8, v4, v80                                 // 0000000098D0: D1CB0050 05420908
	v_fma_f32 v81, v9, v4, v81                                 // 0000000098D8: D1CB0051 05460909
	v_fma_f32 v82, v10, v4, v82                                // 0000000098E0: D1CB0052 054A090A
	v_fma_f32 v83, v11, v4, v83                                // 0000000098E8: D1CB0053 054E090B
	v_mul_f32_dpp v4, v24, v53 row_newbcast:0 row_mask:0xf bank_mask:0xf// 0000000098F0: 0A086AFA FF015018
	v_mfma_f32_16x16x32_fp8_fp8 v[8:11], a[112:113], a[88:89], 0// 0000000098F8: D3F30008 1A02B170
	buffer_load_dword v58, s[20:23], 0 offen lds               // 000000009900: E0511000 8005003A
	s_add_u32 m0, 0x300, s49                                   // 000000009908: 807C31FF 00000300
	v_mfma_f32_16x16x32_fp8_fp8 v[8:11], a[114:115], a[90:91], v[8:11]// 000000009910: D3F30008 1C22B572
	v_mfma_f32_16x16x32_fp8_fp8 v[8:11], a[116:117], a[92:93], v[8:11]// 000000009918: D3F30008 1C22B974
	buffer_load_dword v59, s[20:23], 0 offen lds               // 000000009920: E0511000 8005003B
	s_add_u32 m0, 0x400, s49                                   // 000000009928: 807C31FF 00000400
	v_mfma_f32_16x16x32_fp8_fp8 v[8:11], a[118:119], a[94:95], v[8:11]// 000000009930: D3F30008 1C22BD76
	v_fma_f32 v84, v12, v6, v84                                // 000000009938: D1CB0054 05520D0C
	v_fma_f32 v85, v13, v6, v85                                // 000000009940: D1CB0055 05560D0D
	v_fma_f32 v86, v14, v6, v86                                // 000000009948: D1CB0056 055A0D0E
	v_fma_f32 v87, v15, v6, v87                                // 000000009950: D1CB0057 055E0D0F
	v_mul_f32_dpp v6, v24, v54 row_newbcast:0 row_mask:0xf bank_mask:0xf// 000000009958: 0A0C6CFA FF015018
	v_mfma_f32_16x16x32_fp8_fp8 v[12:15], a[112:113], a[96:97], 0// 000000009960: D3F3000C 1A02C170
	buffer_load_dword v60, s[20:23], 0 offen lds               // 000000009968: E0511000 8005003C
	s_add_u32 m0, 0x500, s49                                   // 000000009970: 807C31FF 00000500
	v_mfma_f32_16x16x32_fp8_fp8 v[12:15], a[114:115], a[98:99], v[12:15]// 000000009978: D3F3000C 1C32C572
	v_mfma_f32_16x16x32_fp8_fp8 v[12:15], a[116:117], a[100:101], v[12:15]// 000000009980: D3F3000C 1C32C974
	buffer_load_dword v61, s[20:23], 0 offen lds               // 000000009988: E0511000 8005003D
	s_add_u32 m0, 0x600, s49                                   // 000000009990: 807C31FF 00000600
	v_mfma_f32_16x16x32_fp8_fp8 v[12:15], a[118:119], a[102:103], v[12:15]// 000000009998: D3F3000C 1C32CD76
	v_fma_f32 v88, v8, v4, v88                                 // 0000000099A0: D1CB0058 05620908
	v_fma_f32 v89, v9, v4, v89                                 // 0000000099A8: D1CB0059 05660909
	v_fma_f32 v90, v10, v4, v90                                // 0000000099B0: D1CB005A 056A090A
	v_fma_f32 v91, v11, v4, v91                                // 0000000099B8: D1CB005B 056E090B
	v_mul_f32_dpp v4, v24, v55 row_newbcast:0 row_mask:0xf bank_mask:0xf// 0000000099C0: 0A086EFA FF015018
	v_mfma_f32_16x16x32_fp8_fp8 v[8:11], a[112:113], a[104:105], 0// 0000000099C8: D3F30008 1A02D170
	buffer_load_dword v62, s[20:23], 0 offen lds               // 0000000099D0: E0511000 8005003E
	s_add_u32 m0, 0x700, s49                                   // 0000000099D8: 807C31FF 00000700
	v_mfma_f32_16x16x32_fp8_fp8 v[8:11], a[114:115], a[106:107], v[8:11]// 0000000099E0: D3F30008 1C22D572
	v_mfma_f32_16x16x32_fp8_fp8 v[8:11], a[116:117], a[108:109], v[8:11]// 0000000099E8: D3F30008 1C22D974
	buffer_load_dword v63, s[20:23], 0 offen lds               // 0000000099F0: E0511000 8005003F
	s_add_u32 m0, 0x800, s49                                   // 0000000099F8: 807C31FF 00000800
	v_mfma_f32_16x16x32_fp8_fp8 v[8:11], a[118:119], a[110:111], v[8:11]// 000000009A00: D3F30008 1C22DD76
	v_fma_f32 v92, v12, v6, v92                                // 000000009A08: D1CB005C 05720D0C
	v_fma_f32 v93, v13, v6, v93                                // 000000009A10: D1CB005D 05760D0D
	v_fma_f32 v94, v14, v6, v94                                // 000000009A18: D1CB005E 057A0D0E
	v_fma_f32 v95, v15, v6, v95                                // 000000009A20: D1CB005F 057E0D0F
	s_waitcnt vmcnt(13)                                        // 000000009A28: BF8C0F7D
	v_mul_f32_dpp v6, v24, v49 row_newbcast:0 row_mask:0xf bank_mask:0xf// 000000009A2C: 0A0C62FA FF015018
	v_mfma_f32_16x16x32_fp8_fp8 v[12:15], a[120:121], a[56:57], 0// 000000009A34: D3F3000C 1A027178
	buffer_load_dword v64, s[20:23], 0 offen lds               // 000000009A3C: E0511000 80050040
	s_add_u32 m0, 0x900, s49                                   // 000000009A44: 807C31FF 00000900
	v_mfma_f32_16x16x32_fp8_fp8 v[12:15], a[122:123], a[58:59], v[12:15]// 000000009A4C: D3F3000C 1C32757A
	v_mfma_f32_16x16x32_fp8_fp8 v[12:15], a[124:125], a[60:61], v[12:15]// 000000009A54: D3F3000C 1C32797C
	buffer_load_dword v65, s[20:23], 0 offen lds               // 000000009A5C: E0511000 80050041
	s_add_u32 m0, 0xa00, s49                                   // 000000009A64: 807C31FF 00000A00
	v_mfma_f32_16x16x32_fp8_fp8 v[12:15], a[126:127], a[62:63], v[12:15]// 000000009A6C: D3F3000C 1C327D7E
	v_fma_f32 v96, v8, v4, v96                                 // 000000009A74: D1CB0060 05820908
	v_fma_f32 v97, v9, v4, v97                                 // 000000009A7C: D1CB0061 05860909
	v_fma_f32 v98, v10, v4, v98                                // 000000009A84: D1CB0062 058A090A
	v_fma_f32 v99, v11, v4, v99                                // 000000009A8C: D1CB0063 058E090B
	v_mul_f32_dpp v4, v24, v50 row_newbcast:0 row_mask:0xf bank_mask:0xf// 000000009A94: 0A0864FA FF015018
	v_mfma_f32_16x16x32_fp8_fp8 v[8:11], a[120:121], a[64:65], 0// 000000009A9C: D3F30008 1A028178
	buffer_load_dword v66, s[20:23], 0 offen lds               // 000000009AA4: E0511000 80050042
	s_add_u32 m0, 0xb00, s49                                   // 000000009AAC: 807C31FF 00000B00
	v_mfma_f32_16x16x32_fp8_fp8 v[8:11], a[122:123], a[66:67], v[8:11]// 000000009AB4: D3F30008 1C22857A
	v_mfma_f32_16x16x32_fp8_fp8 v[8:11], a[124:125], a[68:69], v[8:11]// 000000009ABC: D3F30008 1C22897C
	buffer_load_dword v67, s[20:23], 0 offen lds               // 000000009AC4: E0511000 80050043
	s_add_u32 m0, 0xc00, s49                                   // 000000009ACC: 807C31FF 00000C00
	v_mfma_f32_16x16x32_fp8_fp8 v[8:11], a[126:127], a[70:71], v[8:11]// 000000009AD4: D3F30008 1C228D7E
	v_fma_f32 v100, v12, v6, v100                              // 000000009ADC: D1CB0064 05920D0C
	v_fma_f32 v101, v13, v6, v101                              // 000000009AE4: D1CB0065 05960D0D
	v_fma_f32 v102, v14, v6, v102                              // 000000009AEC: D1CB0066 059A0D0E
	v_fma_f32 v103, v15, v6, v103                              // 000000009AF4: D1CB0067 059E0D0F
	v_mul_f32_dpp v6, v24, v51 row_newbcast:0 row_mask:0xf bank_mask:0xf// 000000009AFC: 0A0C66FA FF015018
	v_mfma_f32_16x16x32_fp8_fp8 v[12:15], a[120:121], a[72:73], 0// 000000009B04: D3F3000C 1A029178
	buffer_load_dword v68, s[20:23], 0 offen lds               // 000000009B0C: E0511000 80050044
	s_add_u32 m0, 0xd00, s49                                   // 000000009B14: 807C31FF 00000D00
	v_mfma_f32_16x16x32_fp8_fp8 v[12:15], a[122:123], a[74:75], v[12:15]// 000000009B1C: D3F3000C 1C32957A
	v_mfma_f32_16x16x32_fp8_fp8 v[12:15], a[124:125], a[76:77], v[12:15]// 000000009B24: D3F3000C 1C32997C
	buffer_load_dword v69, s[20:23], 0 offen lds               // 000000009B2C: E0511000 80050045
	s_add_u32 m0, 0, s48                                       // 000000009B34: 807C3080
	v_mfma_f32_16x16x32_fp8_fp8 v[12:15], a[126:127], a[78:79], v[12:15]// 000000009B38: D3F3000C 1C329D7E
	v_fma_f32 v104, v8, v4, v104                               // 000000009B40: D1CB0068 05A20908
	v_fma_f32 v105, v9, v4, v105                               // 000000009B48: D1CB0069 05A60909
	v_fma_f32 v106, v10, v4, v106                              // 000000009B50: D1CB006A 05AA090A
	v_fma_f32 v107, v11, v4, v107                              // 000000009B58: D1CB006B 05AE090B
	v_mul_f32_dpp v4, v24, v52 row_newbcast:0 row_mask:0xf bank_mask:0xf// 000000009B60: 0A0868FA FF015018
	v_mfma_f32_16x16x32_fp8_fp8 v[8:11], a[120:121], a[80:81], 0// 000000009B68: D3F30008 1A02A178
	buffer_load_dword v42, v28, s[28:31], 0 offen              // 000000009B70: E0501000 80072A1C
	v_mfma_f32_16x16x32_fp8_fp8 v[8:11], a[122:123], a[82:83], v[8:11]// 000000009B78: D3F30008 1C22A57A
	v_mfma_f32_16x16x32_fp8_fp8 v[8:11], a[124:125], a[84:85], v[8:11]// 000000009B80: D3F30008 1C22A97C
	buffer_load_dword v43, v29, s[28:31], 0 offen              // 000000009B88: E0501000 80072B1D
	v_mfma_f32_16x16x32_fp8_fp8 v[8:11], a[126:127], a[86:87], v[8:11]// 000000009B90: D3F30008 1C22AD7E
	v_fma_f32 v108, v12, v6, v108                              // 000000009B98: D1CB006C 05B20D0C
	v_fma_f32 v109, v13, v6, v109                              // 000000009BA0: D1CB006D 05B60D0D
	v_fma_f32 v110, v14, v6, v110                              // 000000009BA8: D1CB006E 05BA0D0E
	v_fma_f32 v111, v15, v6, v111                              // 000000009BB0: D1CB006F 05BE0D0F
	v_mul_f32_dpp v6, v24, v53 row_newbcast:0 row_mask:0xf bank_mask:0xf// 000000009BB8: 0A0C6AFA FF015018
	v_mfma_f32_16x16x32_fp8_fp8 v[12:15], a[120:121], a[88:89], 0// 000000009BC0: D3F3000C 1A02B178
	buffer_load_dword v44, v30, s[28:31], 0 offen              // 000000009BC8: E0501000 80072C1E
	v_mfma_f32_16x16x32_fp8_fp8 v[12:15], a[122:123], a[90:91], v[12:15]// 000000009BD0: D3F3000C 1C32B57A
	v_mfma_f32_16x16x32_fp8_fp8 v[12:15], a[124:125], a[92:93], v[12:15]// 000000009BD8: D3F3000C 1C32B97C
	buffer_load_dword v45, v31, s[28:31], 0 offen              // 000000009BE0: E0501000 80072D1F
	v_mfma_f32_16x16x32_fp8_fp8 v[12:15], a[126:127], a[94:95], v[12:15]// 000000009BE8: D3F3000C 1C32BD7E
	v_fma_f32 v112, v8, v4, v112                               // 000000009BF0: D1CB0070 05C20908
	v_fma_f32 v113, v9, v4, v113                               // 000000009BF8: D1CB0071 05C60909
	v_fma_f32 v114, v10, v4, v114                              // 000000009C00: D1CB0072 05CA090A
	v_fma_f32 v115, v11, v4, v115                              // 000000009C08: D1CB0073 05CE090B
	v_mul_f32_dpp v4, v24, v54 row_newbcast:0 row_mask:0xf bank_mask:0xf// 000000009C10: 0A086CFA FF015018
	v_mfma_f32_16x16x32_fp8_fp8 v[8:11], a[120:121], a[96:97], 0// 000000009C18: D3F30008 1A02C178
	buffer_load_dword v46, v32, s[28:31], 0 offen              // 000000009C20: E0501000 80072E20
	v_mfma_f32_16x16x32_fp8_fp8 v[8:11], a[122:123], a[98:99], v[8:11]// 000000009C28: D3F30008 1C22C57A
	v_mfma_f32_16x16x32_fp8_fp8 v[8:11], a[124:125], a[100:101], v[8:11]// 000000009C30: D3F30008 1C22C97C
	buffer_load_dword v47, v33, s[28:31], 0 offen              // 000000009C38: E0501000 80072F21
	v_mfma_f32_16x16x32_fp8_fp8 v[8:11], a[126:127], a[102:103], v[8:11]// 000000009C40: D3F30008 1C22CD7E
	v_fma_f32 v116, v12, v6, v116                              // 000000009C48: D1CB0074 05D20D0C
	v_fma_f32 v117, v13, v6, v117                              // 000000009C50: D1CB0075 05D60D0D
	v_fma_f32 v118, v14, v6, v118                              // 000000009C58: D1CB0076 05DA0D0E
	v_fma_f32 v119, v15, v6, v119                              // 000000009C60: D1CB0077 05DE0D0F
	v_mul_f32_dpp v6, v24, v55 row_newbcast:0 row_mask:0xf bank_mask:0xf// 000000009C68: 0A0C6EFA FF015018
	v_mfma_f32_16x16x32_fp8_fp8 v[12:15], a[120:121], a[104:105], 0// 000000009C70: D3F3000C 1A02D178
	buffer_load_dword v48, v34, s[28:31], 0 offen              // 000000009C78: E0501000 80073022
	v_mfma_f32_16x16x32_fp8_fp8 v[12:15], a[122:123], a[106:107], v[12:15]// 000000009C80: D3F3000C 1C32D57A
	s_add_u32 s60, 0x80, s80                                   // 000000009C88: 803C50FF 00000080
	s_cmp_lt_u32 s60, s81                                      // 000000009C90: BF0A513C
	s_cselect_b32 s83, s83, 0                                  // 000000009C94: 85538053
	s_cselect_b32 s4, s4, 0                                    // 000000009C98: 85048004
	v_mfma_f32_16x16x32_fp8_fp8 v[12:15], a[124:125], a[108:109], v[12:15]// 000000009C9C: D3F3000C 1C32D97C
	s_add_u32 s32, s4, s32                                     // 000000009CA4: 80202004
	s_addc_u32 s33, 0, s33                                     // 000000009CA8: 82212180
	v_mfma_f32_16x16x32_fp8_fp8 v[12:15], a[126:127], a[110:111], v[12:15]// 000000009CAC: D3F3000C 1C32DD7E
	v_fma_f32 v120, v8, v4, v120                               // 000000009CB4: D1CB0078 05E20908
	v_fma_f32 v121, v9, v4, v121                               // 000000009CBC: D1CB0079 05E60909
	v_fma_f32 v122, v10, v4, v122                              // 000000009CC4: D1CB007A 05EA090A
	v_fma_f32 v123, v11, v4, v123                              // 000000009CCC: D1CB007B 05EE090B
	v_fma_f32 v124, v12, v6, v124                              // 000000009CD4: D1CB007C 05F20D0C
	v_fma_f32 v125, v13, v6, v125                              // 000000009CDC: D1CB007D 05F60D0D
	v_fma_f32 v126, v14, v6, v126                              // 000000009CE4: D1CB007E 05FA0D0E
	v_fma_f32 v127, v15, v6, v127                              // 000000009CEC: D1CB007F 05FE0D0F
	s_waitcnt vmcnt(21)                                        // 000000009CF4: BF8C4F75
	v_mul_f32_dpp v4, v27, v49 row_newbcast:0 row_mask:0xf bank_mask:0xf// 000000009CF8: 0A0862FA FF01501B
	v_mfma_f32_16x16x32_fp8_fp8 v[8:11], a[128:129], a[56:57], 0// 000000009D00: D3F30008 1A027180
	buffer_load_dword v24, v22, s[32:35], 0 offen              // 000000009D08: E0501000 80081816
	buffer_load_dwordx4 a[112:115], v70, s[24:27], 0 offen     // 000000009D10: E05C1000 80867046
	v_mfma_f32_16x16x32_fp8_fp8 v[8:11], a[130:131], a[58:59], v[8:11]// 000000009D18: D3F30008 1C227582
	v_mfma_f32_16x16x32_fp8_fp8 v[8:11], a[132:133], a[60:61], v[8:11]// 000000009D20: D3F30008 1C227984
	ds_read_b128 a[0:3], v2                                    // 000000009D28: DBFE0000 00000002
	ds_read_b128 a[4:7], v2 offset:64                          // 000000009D30: DBFE0040 04000002
	v_mfma_f32_16x16x32_fp8_fp8 v[8:11], a[134:135], a[62:63], v[8:11]// 000000009D38: D3F30008 1C227D86
	v_mfma_f32_16x16x32_fp8_fp8 v[12:15], a[136:137], a[56:57], 0// 000000009D40: D3F3000C 1A027188
	buffer_load_dwordx4 a[116:119], v70, s[24:27], 0 offen offset:1024// 000000009D48: E05C1400 80867446
	v_mfma_f32_16x16x32_fp8_fp8 v[12:15], a[138:139], a[58:59], v[12:15]// 000000009D50: D3F3000C 1C32758A
	v_mfma_f32_16x16x32_fp8_fp8 v[12:15], a[140:141], a[60:61], v[12:15]// 000000009D58: D3F3000C 1C32798C
	ds_read_b128 a[8:11], v2 offset:512                        // 000000009D60: DBFE0200 08000002
	ds_read_b128 a[12:15], v2 offset:576                       // 000000009D68: DBFE0240 0C000002
	v_mfma_f32_16x16x32_fp8_fp8 v[12:15], a[142:143], a[62:63], v[12:15]// 000000009D70: D3F3000C 1C327D8E
	v_fma_f32 v128, v8, v4, v128                               // 000000009D78: D1CB0080 06020908
	v_fma_f32 v129, v9, v4, v129                               // 000000009D80: D1CB0081 06060909
	v_fma_f32 v130, v10, v4, v130                              // 000000009D88: D1CB0082 060A090A
	v_fma_f32 v131, v11, v4, v131                              // 000000009D90: D1CB0083 060E090B
	v_mul_f32_dpp v6, v27, v50 row_newbcast:0 row_mask:0xf bank_mask:0xf// 000000009D98: 0A0C64FA FF01501B
	v_mfma_f32_16x16x32_fp8_fp8 v[8:11], a[128:129], a[64:65], 0// 000000009DA0: D3F30008 1A028180
	buffer_load_dwordx4 a[120:123], v71, s[24:27], 0 offen     // 000000009DA8: E05C1000 80867847
	v_mfma_f32_16x16x32_fp8_fp8 v[8:11], a[130:131], a[66:67], v[8:11]// 000000009DB0: D3F30008 1C228582
	v_mfma_f32_16x16x32_fp8_fp8 v[8:11], a[132:133], a[68:69], v[8:11]// 000000009DB8: D3F30008 1C228984
	ds_read_b128 a[16:19], v2 offset:1024                      // 000000009DC0: DBFE0400 10000002
	ds_read_b128 a[20:23], v2 offset:1088                      // 000000009DC8: DBFE0440 14000002
	v_mfma_f32_16x16x32_fp8_fp8 v[8:11], a[134:135], a[70:71], v[8:11]// 000000009DD0: D3F30008 1C228D86
	v_fma_f32 v156, v12, v4, v156                              // 000000009DD8: D1CB009C 0672090C
	v_fma_f32 v157, v13, v4, v157                              // 000000009DE0: D1CB009D 0676090D
	v_fma_f32 v158, v14, v4, v158                              // 000000009DE8: D1CB009E 067A090E
	v_fma_f32 v159, v15, v4, v159                              // 000000009DF0: D1CB009F 067E090F
	v_mfma_f32_16x16x32_fp8_fp8 v[12:15], a[136:137], a[64:65], 0// 000000009DF8: D3F3000C 1A028188
	buffer_load_dwordx4 a[124:127], v71, s[24:27], 0 offen offset:1024// 000000009E00: E05C1400 80867C47
	v_mfma_f32_16x16x32_fp8_fp8 v[12:15], a[138:139], a[66:67], v[12:15]// 000000009E08: D3F3000C 1C32858A
	v_mfma_f32_16x16x32_fp8_fp8 v[12:15], a[140:141], a[68:69], v[12:15]// 000000009E10: D3F3000C 1C32898C
	ds_read_b128 a[24:27], v2 offset:1536                      // 000000009E18: DBFE0600 18000002
	ds_read_b128 a[28:31], v2 offset:1600                      // 000000009E20: DBFE0640 1C000002
	v_mfma_f32_16x16x32_fp8_fp8 v[12:15], a[142:143], a[70:71], v[12:15]// 000000009E28: D3F3000C 1C328D8E
	v_fma_f32 v132, v8, v6, v132                               // 000000009E30: D1CB0084 06120D08
	v_fma_f32 v133, v9, v6, v133                               // 000000009E38: D1CB0085 06160D09
	v_fma_f32 v134, v10, v6, v134                              // 000000009E40: D1CB0086 061A0D0A
	v_fma_f32 v135, v11, v6, v135                              // 000000009E48: D1CB0087 061E0D0B
	v_mul_f32_dpp v4, v27, v51 row_newbcast:0 row_mask:0xf bank_mask:0xf// 000000009E50: 0A0866FA FF01501B
	v_mfma_f32_16x16x32_fp8_fp8 v[8:11], a[128:129], a[72:73], 0// 000000009E58: D3F30008 1A029180
	v_mfma_f32_16x16x32_fp8_fp8 v[8:11], a[130:131], a[74:75], v[8:11]// 000000009E60: D3F30008 1C229582
	v_mfma_f32_16x16x32_fp8_fp8 v[8:11], a[132:133], a[76:77], v[8:11]// 000000009E68: D3F30008 1C229984
	ds_read_b128 a[32:35], v2 offset:2048                      // 000000009E70: DBFE0800 20000002
	ds_read_b128 a[36:39], v2 offset:2112                      // 000000009E78: DBFE0840 24000002
	v_mfma_f32_16x16x32_fp8_fp8 v[8:11], a[134:135], a[78:79], v[8:11]// 000000009E80: D3F30008 1C229D86
	v_fma_f32 v160, v12, v6, v160                              // 000000009E88: D1CB00A0 06820D0C
	v_fma_f32 v161, v13, v6, v161                              // 000000009E90: D1CB00A1 06860D0D
	v_fma_f32 v162, v14, v6, v162                              // 000000009E98: D1CB00A2 068A0D0E
	v_fma_f32 v163, v15, v6, v163                              // 000000009EA0: D1CB00A3 068E0D0F
	v_mfma_f32_16x16x32_fp8_fp8 v[12:15], a[136:137], a[72:73], 0// 000000009EA8: D3F3000C 1A029188
	v_mfma_f32_16x16x32_fp8_fp8 v[12:15], a[138:139], a[74:75], v[12:15]// 000000009EB0: D3F3000C 1C32958A
	v_mfma_f32_16x16x32_fp8_fp8 v[12:15], a[140:141], a[76:77], v[12:15]// 000000009EB8: D3F3000C 1C32998C
	ds_read_b128 a[40:43], v2 offset:2560                      // 000000009EC0: DBFE0A00 28000002
	ds_read_b128 a[44:47], v2 offset:2624                      // 000000009EC8: DBFE0A40 2C000002
	v_mfma_f32_16x16x32_fp8_fp8 v[12:15], a[142:143], a[78:79], v[12:15]// 000000009ED0: D3F3000C 1C329D8E
	v_fma_f32 v136, v8, v4, v136                               // 000000009ED8: D1CB0088 06220908
	v_fma_f32 v137, v9, v4, v137                               // 000000009EE0: D1CB0089 06260909
	v_fma_f32 v138, v10, v4, v138                              // 000000009EE8: D1CB008A 062A090A
	v_fma_f32 v139, v11, v4, v139                              // 000000009EF0: D1CB008B 062E090B
	v_mul_f32_dpp v6, v27, v52 row_newbcast:0 row_mask:0xf bank_mask:0xf// 000000009EF8: 0A0C68FA FF01501B
	v_mfma_f32_16x16x32_fp8_fp8 v[8:11], a[128:129], a[80:81], 0// 000000009F00: D3F30008 1A02A180
	v_mfma_f32_16x16x32_fp8_fp8 v[8:11], a[130:131], a[82:83], v[8:11]// 000000009F08: D3F30008 1C22A582
	v_mfma_f32_16x16x32_fp8_fp8 v[8:11], a[132:133], a[84:85], v[8:11]// 000000009F10: D3F30008 1C22A984
	ds_read_b128 a[48:51], v2 offset:3072                      // 000000009F18: DBFE0C00 30000002
	ds_read_b128 a[52:55], v2 offset:3136                      // 000000009F20: DBFE0C40 34000002
	v_mfma_f32_16x16x32_fp8_fp8 v[8:11], a[134:135], a[86:87], v[8:11]// 000000009F28: D3F30008 1C22AD86
	v_fma_f32 v164, v12, v4, v164                              // 000000009F30: D1CB00A4 0692090C
	v_fma_f32 v165, v13, v4, v165                              // 000000009F38: D1CB00A5 0696090D
	v_fma_f32 v166, v14, v4, v166                              // 000000009F40: D1CB00A6 069A090E
	v_fma_f32 v167, v15, v4, v167                              // 000000009F48: D1CB00A7 069E090F
	v_mfma_f32_16x16x32_fp8_fp8 v[12:15], a[136:137], a[80:81], 0// 000000009F50: D3F3000C 1A02A188
	v_mfma_f32_16x16x32_fp8_fp8 v[12:15], a[138:139], a[82:83], v[12:15]// 000000009F58: D3F3000C 1C32A58A
	v_mfma_f32_16x16x32_fp8_fp8 v[12:15], a[140:141], a[84:85], v[12:15]// 000000009F60: D3F3000C 1C32A98C
	v_mfma_f32_16x16x32_fp8_fp8 v[12:15], a[142:143], a[86:87], v[12:15]// 000000009F68: D3F3000C 1C32AD8E
	v_fma_f32 v140, v8, v6, v140                               // 000000009F70: D1CB008C 06320D08
	v_fma_f32 v141, v9, v6, v141                               // 000000009F78: D1CB008D 06360D09
	v_fma_f32 v142, v10, v6, v142                              // 000000009F80: D1CB008E 063A0D0A
	v_fma_f32 v143, v11, v6, v143                              // 000000009F88: D1CB008F 063E0D0B
	v_mul_f32_dpp v4, v27, v53 row_newbcast:0 row_mask:0xf bank_mask:0xf// 000000009F90: 0A086AFA FF01501B
	v_mfma_f32_16x16x32_fp8_fp8 v[8:11], a[128:129], a[88:89], 0// 000000009F98: D3F30008 1A02B180
	v_mfma_f32_16x16x32_fp8_fp8 v[8:11], a[130:131], a[90:91], v[8:11]// 000000009FA0: D3F30008 1C22B582
	v_mfma_f32_16x16x32_fp8_fp8 v[8:11], a[132:133], a[92:93], v[8:11]// 000000009FA8: D3F30008 1C22B984
	v_mfma_f32_16x16x32_fp8_fp8 v[8:11], a[134:135], a[94:95], v[8:11]// 000000009FB0: D3F30008 1C22BD86
	v_fma_f32 v168, v12, v6, v168                              // 000000009FB8: D1CB00A8 06A20D0C
	v_fma_f32 v169, v13, v6, v169                              // 000000009FC0: D1CB00A9 06A60D0D
	v_fma_f32 v170, v14, v6, v170                              // 000000009FC8: D1CB00AA 06AA0D0E
	v_fma_f32 v171, v15, v6, v171                              // 000000009FD0: D1CB00AB 06AE0D0F
	v_mfma_f32_16x16x32_fp8_fp8 v[12:15], a[136:137], a[88:89], 0// 000000009FD8: D3F3000C 1A02B188
	v_mfma_f32_16x16x32_fp8_fp8 v[12:15], a[138:139], a[90:91], v[12:15]// 000000009FE0: D3F3000C 1C32B58A
	v_mfma_f32_16x16x32_fp8_fp8 v[12:15], a[140:141], a[92:93], v[12:15]// 000000009FE8: D3F3000C 1C32B98C
	v_mfma_f32_16x16x32_fp8_fp8 v[12:15], a[142:143], a[94:95], v[12:15]// 000000009FF0: D3F3000C 1C32BD8E
	v_fma_f32 v144, v8, v4, v144                               // 000000009FF8: D1CB0090 06420908
	v_fma_f32 v145, v9, v4, v145                               // 00000000A000: D1CB0091 06460909
	v_fma_f32 v146, v10, v4, v146                              // 00000000A008: D1CB0092 064A090A
	v_fma_f32 v147, v11, v4, v147                              // 00000000A010: D1CB0093 064E090B
	v_mul_f32_dpp v6, v27, v54 row_newbcast:0 row_mask:0xf bank_mask:0xf// 00000000A018: 0A0C6CFA FF01501B
	v_mfma_f32_16x16x32_fp8_fp8 v[8:11], a[128:129], a[96:97], 0// 00000000A020: D3F30008 1A02C180
	v_mfma_f32_16x16x32_fp8_fp8 v[8:11], a[130:131], a[98:99], v[8:11]// 00000000A028: D3F30008 1C22C582
	v_mfma_f32_16x16x32_fp8_fp8 v[8:11], a[132:133], a[100:101], v[8:11]// 00000000A030: D3F30008 1C22C984
	v_mfma_f32_16x16x32_fp8_fp8 v[8:11], a[134:135], a[102:103], v[8:11]// 00000000A038: D3F30008 1C22CD86
	v_fma_f32 v172, v12, v4, v172                              // 00000000A040: D1CB00AC 06B2090C
	v_fma_f32 v173, v13, v4, v173                              // 00000000A048: D1CB00AD 06B6090D
	v_fma_f32 v174, v14, v4, v174                              // 00000000A050: D1CB00AE 06BA090E
	v_fma_f32 v175, v15, v4, v175                              // 00000000A058: D1CB00AF 06BE090F
	v_mfma_f32_16x16x32_fp8_fp8 v[12:15], a[136:137], a[96:97], 0// 00000000A060: D3F3000C 1A02C188
	v_mfma_f32_16x16x32_fp8_fp8 v[12:15], a[138:139], a[98:99], v[12:15]// 00000000A068: D3F3000C 1C32C58A
	v_mfma_f32_16x16x32_fp8_fp8 v[12:15], a[140:141], a[100:101], v[12:15]// 00000000A070: D3F3000C 1C32C98C
	v_mfma_f32_16x16x32_fp8_fp8 v[12:15], a[142:143], a[102:103], v[12:15]// 00000000A078: D3F3000C 1C32CD8E
	v_fma_f32 v148, v8, v6, v148                               // 00000000A080: D1CB0094 06520D08
	v_fma_f32 v149, v9, v6, v149                               // 00000000A088: D1CB0095 06560D09
	v_fma_f32 v150, v10, v6, v150                              // 00000000A090: D1CB0096 065A0D0A
	v_fma_f32 v151, v11, v6, v151                              // 00000000A098: D1CB0097 065E0D0B
	v_mul_f32_dpp v4, v27, v55 row_newbcast:0 row_mask:0xf bank_mask:0xf// 00000000A0A0: 0A086EFA FF01501B
	v_mfma_f32_16x16x32_fp8_fp8 v[8:11], a[128:129], a[104:105], 0// 00000000A0A8: D3F30008 1A02D180
	v_mfma_f32_16x16x32_fp8_fp8 v[8:11], a[130:131], a[106:107], v[8:11]// 00000000A0B0: D3F30008 1C22D582
	v_mfma_f32_16x16x32_fp8_fp8 v[8:11], a[132:133], a[108:109], v[8:11]// 00000000A0B8: D3F30008 1C22D984
	s_add_u32 s60, 0x180, s80                                  // 00000000A0C0: 803C50FF 00000180
	s_cmp_lt_u32 s60, s81                                      // 00000000A0C8: BF0A513C
	s_cselect_b32 s57, s57, 0                                  // 00000000A0CC: 85398039
	s_cselect_b32 s3, s3, 0                                    // 00000000A0D0: 85038003
	v_mfma_f32_16x16x32_fp8_fp8 v[8:11], a[134:135], a[110:111], v[8:11]// 00000000A0D4: D3F30008 1C22DD86
	s_add_u32 s60, 0x100, s80                                  // 00000000A0DC: 803C50FF 00000100
	s_cmp_lt_u32 s60, s81                                      // 00000000A0E4: BF0A513C
	s_cselect_b32 s58, s58, 0                                  // 00000000A0E8: 853A803A
	v_fma_f32 v176, v12, v6, v176                              // 00000000A0EC: D1CB00B0 06C20D0C
	v_fma_f32 v177, v13, v6, v177                              // 00000000A0F4: D1CB00B1 06C60D0D
	v_fma_f32 v178, v14, v6, v178                              // 00000000A0FC: D1CB00B2 06CA0D0E
	v_fma_f32 v179, v15, v6, v179                              // 00000000A104: D1CB00B3 06CE0D0F
	v_mfma_f32_16x16x32_fp8_fp8 v[12:15], a[136:137], a[104:105], 0// 00000000A10C: D3F3000C 1A02D188
	s_add_u32 s24, s58, s24                                    // 00000000A114: 8018183A
	s_addc_u32 s25, 0, s25                                     // 00000000A118: 82191980
	v_mfma_f32_16x16x32_fp8_fp8 v[12:15], a[138:139], a[106:107], v[12:15]// 00000000A11C: D3F3000C 1C32D58A
	s_add_u32 s20, s57, s20                                    // 00000000A124: 80141439
	s_addc_u32 s21, 0, s21                                     // 00000000A128: 82151580
	s_add_u32 s28, s3, s28                                     // 00000000A12C: 801C1C03
	s_addc_u32 s29, 0, s29                                     // 00000000A130: 821D1D80
	v_mfma_f32_16x16x32_fp8_fp8 v[12:15], a[140:141], a[108:109], v[12:15]// 00000000A134: D3F3000C 1C32D98C
	s_add_u32 s84, s83, s84                                    // 00000000A13C: 80545453
	s_addc_u32 s85, 0, s85                                     // 00000000A140: 82555580
	v_mfma_f32_16x16x32_fp8_fp8 v[12:15], a[142:143], a[110:111], v[12:15]// 00000000A144: D3F3000C 1C32DD8E
	v_fma_f32 v152, v8, v4, v152                               // 00000000A14C: D1CB0098 06620908
	v_fma_f32 v153, v9, v4, v153                               // 00000000A154: D1CB0099 06660909
	v_fma_f32 v154, v10, v4, v154                              // 00000000A15C: D1CB009A 066A090A
	v_fma_f32 v155, v11, v4, v155                              // 00000000A164: D1CB009B 066E090B
	v_fma_f32 v180, v12, v4, v180                              // 00000000A16C: D1CB00B4 06D2090C
	v_fma_f32 v181, v13, v4, v181                              // 00000000A174: D1CB00B5 06D6090D
	v_fma_f32 v182, v14, v4, v182                              // 00000000A17C: D1CB00B6 06DA090E
	v_fma_f32 v183, v15, v4, v183                              // 00000000A184: D1CB00B7 06DE090F
	s_addk_i32 s80, 0x80                                       // 00000000A18C: B7500080
	s_cmp_lt_i32 s80, s81                                      // 00000000A190: BF045150
	s_cbranch_scc0 label_1DEA                                  // 00000000A194: BF840001
	s_branch label_18DF                                        // 00000000A198: BF82FAF5

000000000000a19c <label_1DEA>:
	s_cmp_eq_u32 s88, 0                                        // 00000000A19C: BF068058
	s_cbranch_scc0 label_2752                                  // 00000000A1A0: BF840966
	s_cmp_eq_u32 s89, 0                                        // 00000000A1A4: BF068059
	s_cbranch_scc1 label_2023                                  // 00000000A1A8: BF850235
	v_mov_b32_e32 v8, v1                                       // 00000000A1AC: 7E100301
	v_mov_b32_e32 v9, v1                                       // 00000000A1B0: 7E120301
	s_mov_b32 s60, s6                                          // 00000000A1B4: BEBC0006
	s_mov_b32 s61, s6                                          // 00000000A1B8: BEBD0006
	v_pk_mul_f32 v[4:5], v[72:73], v[72:73]                    // 00000000A1BC: D3B14004 18029148
	v_pk_mul_f32 v[6:7], v[74:75], v[74:75]                    // 00000000A1C4: D3B14006 1802954A
	v_pk_fma_f32 v[4:5], v[4:5], s[78:79], v[8:9]              // 00000000A1CC: D3B04004 1C209D04
	v_pk_fma_f32 v[6:7], v[6:7], s[78:79], v[8:9]              // 00000000A1D4: D3B04006 1C209D06
	v_pk_mul_f32 v[4:5], v[4:5], v[72:73]                      // 00000000A1DC: D3B14004 18029104
	v_pk_mul_f32 v[6:7], v[6:7], v[74:75]                      // 00000000A1E4: D3B14006 18029506
	v_pk_mul_f32 v[4:5], v[4:5], s[60:61]                      // 00000000A1EC: D3B14004 18007904
	v_pk_mul_f32 v[6:7], v[6:7], s[60:61]                      // 00000000A1F4: D3B14006 18007906
	v_exp_f32_e32 v4, v4                                       // 00000000A1FC: 7E084104
	v_exp_f32_e32 v5, v5                                       // 00000000A200: 7E0A4105
	v_exp_f32_e32 v6, v6                                       // 00000000A204: 7E0C4106
	v_exp_f32_e32 v7, v7                                       // 00000000A208: 7E0E4107
	v_add_f32_e64 v4, v4, 1.0                                  // 00000000A20C: D1010004 0001E504
	v_add_f32_e64 v5, v5, 1.0                                  // 00000000A214: D1010005 0001E505
	v_add_f32_e64 v6, v6, 1.0                                  // 00000000A21C: D1010006 0001E506
	v_add_f32_e64 v7, v7, 1.0                                  // 00000000A224: D1010007 0001E507
	v_rcp_f32_e32 v4, v4                                       // 00000000A22C: 7E084504
	v_rcp_f32_e32 v5, v5                                       // 00000000A230: 7E0A4505
	v_rcp_f32_e32 v6, v6                                       // 00000000A234: 7E0C4506
	v_rcp_f32_e32 v7, v7                                       // 00000000A238: 7E0E4507
	v_mul_f32_e32 v72, v72, v4                                 // 00000000A23C: 0A900948
	v_mul_f32_e32 v73, v73, v5                                 // 00000000A240: 0A920B49
	v_mul_f32_e32 v74, v74, v6                                 // 00000000A244: 0A940D4A
	v_mul_f32_e32 v75, v75, v7                                 // 00000000A248: 0A960F4B
	v_mul_f32_e32 v72, v72, v128                               // 00000000A24C: 0A910148
	v_mul_f32_e32 v73, v73, v129                               // 00000000A250: 0A930349
	v_mul_f32_e32 v74, v74, v130                               // 00000000A254: 0A95054A
	v_mul_f32_e32 v75, v75, v131                               // 00000000A258: 0A97074B
	v_pk_mul_f32 v[4:5], v[76:77], v[76:77]                    // 00000000A25C: D3B14004 1802994C
	v_pk_mul_f32 v[6:7], v[78:79], v[78:79]                    // 00000000A264: D3B14006 18029D4E
	v_pk_fma_f32 v[4:5], v[4:5], s[78:79], v[8:9]              // 00000000A26C: D3B04004 1C209D04
	v_pk_fma_f32 v[6:7], v[6:7], s[78:79], v[8:9]              // 00000000A274: D3B04006 1C209D06
	v_pk_mul_f32 v[4:5], v[4:5], v[76:77]                      // 00000000A27C: D3B14004 18029904
	v_pk_mul_f32 v[6:7], v[6:7], v[78:79]                      // 00000000A284: D3B14006 18029D06
	v_pk_mul_f32 v[4:5], v[4:5], s[60:61]                      // 00000000A28C: D3B14004 18007904
	v_pk_mul_f32 v[6:7], v[6:7], s[60:61]                      // 00000000A294: D3B14006 18007906
	v_exp_f32_e32 v4, v4                                       // 00000000A29C: 7E084104
	v_exp_f32_e32 v5, v5                                       // 00000000A2A0: 7E0A4105
	v_exp_f32_e32 v6, v6                                       // 00000000A2A4: 7E0C4106
	v_exp_f32_e32 v7, v7                                       // 00000000A2A8: 7E0E4107
	v_add_f32_e64 v4, v4, 1.0                                  // 00000000A2AC: D1010004 0001E504
	v_add_f32_e64 v5, v5, 1.0                                  // 00000000A2B4: D1010005 0001E505
	v_add_f32_e64 v6, v6, 1.0                                  // 00000000A2BC: D1010006 0001E506
	v_add_f32_e64 v7, v7, 1.0                                  // 00000000A2C4: D1010007 0001E507
	v_rcp_f32_e32 v4, v4                                       // 00000000A2CC: 7E084504
	v_rcp_f32_e32 v5, v5                                       // 00000000A2D0: 7E0A4505
	v_rcp_f32_e32 v6, v6                                       // 00000000A2D4: 7E0C4506
	v_rcp_f32_e32 v7, v7                                       // 00000000A2D8: 7E0E4507
	v_mul_f32_e32 v76, v76, v4                                 // 00000000A2DC: 0A98094C
	v_mul_f32_e32 v77, v77, v5                                 // 00000000A2E0: 0A9A0B4D
	v_mul_f32_e32 v78, v78, v6                                 // 00000000A2E4: 0A9C0D4E
	v_mul_f32_e32 v79, v79, v7                                 // 00000000A2E8: 0A9E0F4F
	v_mul_f32_e32 v76, v76, v132                               // 00000000A2EC: 0A99094C
	v_mul_f32_e32 v77, v77, v133                               // 00000000A2F0: 0A9B0B4D
	v_mul_f32_e32 v78, v78, v134                               // 00000000A2F4: 0A9D0D4E
	v_mul_f32_e32 v79, v79, v135                               // 00000000A2F8: 0A9F0F4F
	v_pk_mul_f32 v[4:5], v[80:81], v[80:81]                    // 00000000A2FC: D3B14004 1802A150
	v_pk_mul_f32 v[6:7], v[82:83], v[82:83]                    // 00000000A304: D3B14006 1802A552
	v_pk_fma_f32 v[4:5], v[4:5], s[78:79], v[8:9]              // 00000000A30C: D3B04004 1C209D04
	v_pk_fma_f32 v[6:7], v[6:7], s[78:79], v[8:9]              // 00000000A314: D3B04006 1C209D06
	v_pk_mul_f32 v[4:5], v[4:5], v[80:81]                      // 00000000A31C: D3B14004 1802A104
	v_pk_mul_f32 v[6:7], v[6:7], v[82:83]                      // 00000000A324: D3B14006 1802A506
	v_pk_mul_f32 v[4:5], v[4:5], s[60:61]                      // 00000000A32C: D3B14004 18007904
	v_pk_mul_f32 v[6:7], v[6:7], s[60:61]                      // 00000000A334: D3B14006 18007906
	v_exp_f32_e32 v4, v4                                       // 00000000A33C: 7E084104
	v_exp_f32_e32 v5, v5                                       // 00000000A340: 7E0A4105
	v_exp_f32_e32 v6, v6                                       // 00000000A344: 7E0C4106
	v_exp_f32_e32 v7, v7                                       // 00000000A348: 7E0E4107
	v_add_f32_e64 v4, v4, 1.0                                  // 00000000A34C: D1010004 0001E504
	v_add_f32_e64 v5, v5, 1.0                                  // 00000000A354: D1010005 0001E505
	v_add_f32_e64 v6, v6, 1.0                                  // 00000000A35C: D1010006 0001E506
	v_add_f32_e64 v7, v7, 1.0                                  // 00000000A364: D1010007 0001E507
	v_rcp_f32_e32 v4, v4                                       // 00000000A36C: 7E084504
	v_rcp_f32_e32 v5, v5                                       // 00000000A370: 7E0A4505
	v_rcp_f32_e32 v6, v6                                       // 00000000A374: 7E0C4506
	v_rcp_f32_e32 v7, v7                                       // 00000000A378: 7E0E4507
	v_mul_f32_e32 v80, v80, v4                                 // 00000000A37C: 0AA00950
	v_mul_f32_e32 v81, v81, v5                                 // 00000000A380: 0AA20B51
	v_mul_f32_e32 v82, v82, v6                                 // 00000000A384: 0AA40D52
	v_mul_f32_e32 v83, v83, v7                                 // 00000000A388: 0AA60F53
	v_mul_f32_e32 v80, v80, v136                               // 00000000A38C: 0AA11150
	v_mul_f32_e32 v81, v81, v137                               // 00000000A390: 0AA31351
	v_mul_f32_e32 v82, v82, v138                               // 00000000A394: 0AA51552
	v_mul_f32_e32 v83, v83, v139                               // 00000000A398: 0AA71753
	v_pk_mul_f32 v[4:5], v[84:85], v[84:85]                    // 00000000A39C: D3B14004 1802A954
	v_pk_mul_f32 v[6:7], v[86:87], v[86:87]                    // 00000000A3A4: D3B14006 1802AD56
	v_pk_fma_f32 v[4:5], v[4:5], s[78:79], v[8:9]              // 00000000A3AC: D3B04004 1C209D04
	v_pk_fma_f32 v[6:7], v[6:7], s[78:79], v[8:9]              // 00000000A3B4: D3B04006 1C209D06
	v_pk_mul_f32 v[4:5], v[4:5], v[84:85]                      // 00000000A3BC: D3B14004 1802A904
	v_pk_mul_f32 v[6:7], v[6:7], v[86:87]                      // 00000000A3C4: D3B14006 1802AD06
	v_pk_mul_f32 v[4:5], v[4:5], s[60:61]                      // 00000000A3CC: D3B14004 18007904
	v_pk_mul_f32 v[6:7], v[6:7], s[60:61]                      // 00000000A3D4: D3B14006 18007906
	v_exp_f32_e32 v4, v4                                       // 00000000A3DC: 7E084104
	v_exp_f32_e32 v5, v5                                       // 00000000A3E0: 7E0A4105
	v_exp_f32_e32 v6, v6                                       // 00000000A3E4: 7E0C4106
	v_exp_f32_e32 v7, v7                                       // 00000000A3E8: 7E0E4107
	v_add_f32_e64 v4, v4, 1.0                                  // 00000000A3EC: D1010004 0001E504
	v_add_f32_e64 v5, v5, 1.0                                  // 00000000A3F4: D1010005 0001E505
	v_add_f32_e64 v6, v6, 1.0                                  // 00000000A3FC: D1010006 0001E506
	v_add_f32_e64 v7, v7, 1.0                                  // 00000000A404: D1010007 0001E507
	v_rcp_f32_e32 v4, v4                                       // 00000000A40C: 7E084504
	v_rcp_f32_e32 v5, v5                                       // 00000000A410: 7E0A4505
	v_rcp_f32_e32 v6, v6                                       // 00000000A414: 7E0C4506
	v_rcp_f32_e32 v7, v7                                       // 00000000A418: 7E0E4507
	v_mul_f32_e32 v84, v84, v4                                 // 00000000A41C: 0AA80954
	v_mul_f32_e32 v85, v85, v5                                 // 00000000A420: 0AAA0B55
	v_mul_f32_e32 v86, v86, v6                                 // 00000000A424: 0AAC0D56
	v_mul_f32_e32 v87, v87, v7                                 // 00000000A428: 0AAE0F57
	v_mul_f32_e32 v84, v84, v140                               // 00000000A42C: 0AA91954
	v_mul_f32_e32 v85, v85, v141                               // 00000000A430: 0AAB1B55
	v_mul_f32_e32 v86, v86, v142                               // 00000000A434: 0AAD1D56
	v_mul_f32_e32 v87, v87, v143                               // 00000000A438: 0AAF1F57
	v_pk_mul_f32 v[4:5], v[88:89], v[88:89]                    // 00000000A43C: D3B14004 1802B158
	v_pk_mul_f32 v[6:7], v[90:91], v[90:91]                    // 00000000A444: D3B14006 1802B55A
	v_pk_fma_f32 v[4:5], v[4:5], s[78:79], v[8:9]              // 00000000A44C: D3B04004 1C209D04
	v_pk_fma_f32 v[6:7], v[6:7], s[78:79], v[8:9]              // 00000000A454: D3B04006 1C209D06
	v_pk_mul_f32 v[4:5], v[4:5], v[88:89]                      // 00000000A45C: D3B14004 1802B104
	v_pk_mul_f32 v[6:7], v[6:7], v[90:91]                      // 00000000A464: D3B14006 1802B506
	v_pk_mul_f32 v[4:5], v[4:5], s[60:61]                      // 00000000A46C: D3B14004 18007904
	v_pk_mul_f32 v[6:7], v[6:7], s[60:61]                      // 00000000A474: D3B14006 18007906
	v_exp_f32_e32 v4, v4                                       // 00000000A47C: 7E084104
	v_exp_f32_e32 v5, v5                                       // 00000000A480: 7E0A4105
	v_exp_f32_e32 v6, v6                                       // 00000000A484: 7E0C4106
	v_exp_f32_e32 v7, v7                                       // 00000000A488: 7E0E4107
	v_add_f32_e64 v4, v4, 1.0                                  // 00000000A48C: D1010004 0001E504
	v_add_f32_e64 v5, v5, 1.0                                  // 00000000A494: D1010005 0001E505
	v_add_f32_e64 v6, v6, 1.0                                  // 00000000A49C: D1010006 0001E506
	v_add_f32_e64 v7, v7, 1.0                                  // 00000000A4A4: D1010007 0001E507
	v_rcp_f32_e32 v4, v4                                       // 00000000A4AC: 7E084504
	v_rcp_f32_e32 v5, v5                                       // 00000000A4B0: 7E0A4505
	v_rcp_f32_e32 v6, v6                                       // 00000000A4B4: 7E0C4506
	v_rcp_f32_e32 v7, v7                                       // 00000000A4B8: 7E0E4507
	v_mul_f32_e32 v88, v88, v4                                 // 00000000A4BC: 0AB00958
	v_mul_f32_e32 v89, v89, v5                                 // 00000000A4C0: 0AB20B59
	v_mul_f32_e32 v90, v90, v6                                 // 00000000A4C4: 0AB40D5A
	v_mul_f32_e32 v91, v91, v7                                 // 00000000A4C8: 0AB60F5B
	v_mul_f32_e32 v88, v88, v144                               // 00000000A4CC: 0AB12158
	v_mul_f32_e32 v89, v89, v145                               // 00000000A4D0: 0AB32359
	v_mul_f32_e32 v90, v90, v146                               // 00000000A4D4: 0AB5255A
	v_mul_f32_e32 v91, v91, v147                               // 00000000A4D8: 0AB7275B
	v_pk_mul_f32 v[4:5], v[92:93], v[92:93]                    // 00000000A4DC: D3B14004 1802B95C
	v_pk_mul_f32 v[6:7], v[94:95], v[94:95]                    // 00000000A4E4: D3B14006 1802BD5E
	v_pk_fma_f32 v[4:5], v[4:5], s[78:79], v[8:9]              // 00000000A4EC: D3B04004 1C209D04
	v_pk_fma_f32 v[6:7], v[6:7], s[78:79], v[8:9]              // 00000000A4F4: D3B04006 1C209D06
	v_pk_mul_f32 v[4:5], v[4:5], v[92:93]                      // 00000000A4FC: D3B14004 1802B904
	v_pk_mul_f32 v[6:7], v[6:7], v[94:95]                      // 00000000A504: D3B14006 1802BD06
	v_pk_mul_f32 v[4:5], v[4:5], s[60:61]                      // 00000000A50C: D3B14004 18007904
	v_pk_mul_f32 v[6:7], v[6:7], s[60:61]                      // 00000000A514: D3B14006 18007906
	v_exp_f32_e32 v4, v4                                       // 00000000A51C: 7E084104
	v_exp_f32_e32 v5, v5                                       // 00000000A520: 7E0A4105
	v_exp_f32_e32 v6, v6                                       // 00000000A524: 7E0C4106
	v_exp_f32_e32 v7, v7                                       // 00000000A528: 7E0E4107
	v_add_f32_e64 v4, v4, 1.0                                  // 00000000A52C: D1010004 0001E504
	v_add_f32_e64 v5, v5, 1.0                                  // 00000000A534: D1010005 0001E505
	v_add_f32_e64 v6, v6, 1.0                                  // 00000000A53C: D1010006 0001E506
	v_add_f32_e64 v7, v7, 1.0                                  // 00000000A544: D1010007 0001E507
	v_rcp_f32_e32 v4, v4                                       // 00000000A54C: 7E084504
	v_rcp_f32_e32 v5, v5                                       // 00000000A550: 7E0A4505
	v_rcp_f32_e32 v6, v6                                       // 00000000A554: 7E0C4506
	v_rcp_f32_e32 v7, v7                                       // 00000000A558: 7E0E4507
	v_mul_f32_e32 v92, v92, v4                                 // 00000000A55C: 0AB8095C
	v_mul_f32_e32 v93, v93, v5                                 // 00000000A560: 0ABA0B5D
	v_mul_f32_e32 v94, v94, v6                                 // 00000000A564: 0ABC0D5E
	v_mul_f32_e32 v95, v95, v7                                 // 00000000A568: 0ABE0F5F
	v_mul_f32_e32 v92, v92, v148                               // 00000000A56C: 0AB9295C
	v_mul_f32_e32 v93, v93, v149                               // 00000000A570: 0ABB2B5D
	v_mul_f32_e32 v94, v94, v150                               // 00000000A574: 0ABD2D5E
	v_mul_f32_e32 v95, v95, v151                               // 00000000A578: 0ABF2F5F
	v_pk_mul_f32 v[4:5], v[96:97], v[96:97]                    // 00000000A57C: D3B14004 1802C160
	v_pk_mul_f32 v[6:7], v[98:99], v[98:99]                    // 00000000A584: D3B14006 1802C562
	v_pk_fma_f32 v[4:5], v[4:5], s[78:79], v[8:9]              // 00000000A58C: D3B04004 1C209D04
	v_pk_fma_f32 v[6:7], v[6:7], s[78:79], v[8:9]              // 00000000A594: D3B04006 1C209D06
	v_pk_mul_f32 v[4:5], v[4:5], v[96:97]                      // 00000000A59C: D3B14004 1802C104
	v_pk_mul_f32 v[6:7], v[6:7], v[98:99]                      // 00000000A5A4: D3B14006 1802C506
	v_pk_mul_f32 v[4:5], v[4:5], s[60:61]                      // 00000000A5AC: D3B14004 18007904
	v_pk_mul_f32 v[6:7], v[6:7], s[60:61]                      // 00000000A5B4: D3B14006 18007906
	v_exp_f32_e32 v4, v4                                       // 00000000A5BC: 7E084104
	v_exp_f32_e32 v5, v5                                       // 00000000A5C0: 7E0A4105
	v_exp_f32_e32 v6, v6                                       // 00000000A5C4: 7E0C4106
	v_exp_f32_e32 v7, v7                                       // 00000000A5C8: 7E0E4107
	v_add_f32_e64 v4, v4, 1.0                                  // 00000000A5CC: D1010004 0001E504
	v_add_f32_e64 v5, v5, 1.0                                  // 00000000A5D4: D1010005 0001E505
	v_add_f32_e64 v6, v6, 1.0                                  // 00000000A5DC: D1010006 0001E506
	v_add_f32_e64 v7, v7, 1.0                                  // 00000000A5E4: D1010007 0001E507
	v_rcp_f32_e32 v4, v4                                       // 00000000A5EC: 7E084504
	v_rcp_f32_e32 v5, v5                                       // 00000000A5F0: 7E0A4505
	v_rcp_f32_e32 v6, v6                                       // 00000000A5F4: 7E0C4506
	v_rcp_f32_e32 v7, v7                                       // 00000000A5F8: 7E0E4507
	v_mul_f32_e32 v96, v96, v4                                 // 00000000A5FC: 0AC00960
	v_mul_f32_e32 v97, v97, v5                                 // 00000000A600: 0AC20B61
	v_mul_f32_e32 v98, v98, v6                                 // 00000000A604: 0AC40D62
	v_mul_f32_e32 v99, v99, v7                                 // 00000000A608: 0AC60F63
	v_mul_f32_e32 v96, v96, v152                               // 00000000A60C: 0AC13160
	v_mul_f32_e32 v97, v97, v153                               // 00000000A610: 0AC33361
	v_mul_f32_e32 v98, v98, v154                               // 00000000A614: 0AC53562
	v_mul_f32_e32 v99, v99, v155                               // 00000000A618: 0AC73763
	v_pk_mul_f32 v[4:5], v[100:101], v[100:101]                // 00000000A61C: D3B14004 1802C964
	v_pk_mul_f32 v[6:7], v[102:103], v[102:103]                // 00000000A624: D3B14006 1802CD66
	v_pk_fma_f32 v[4:5], v[4:5], s[78:79], v[8:9]              // 00000000A62C: D3B04004 1C209D04
	v_pk_fma_f32 v[6:7], v[6:7], s[78:79], v[8:9]              // 00000000A634: D3B04006 1C209D06
	v_pk_mul_f32 v[4:5], v[4:5], v[100:101]                    // 00000000A63C: D3B14004 1802C904
	v_pk_mul_f32 v[6:7], v[6:7], v[102:103]                    // 00000000A644: D3B14006 1802CD06
	v_pk_mul_f32 v[4:5], v[4:5], s[60:61]                      // 00000000A64C: D3B14004 18007904
	v_pk_mul_f32 v[6:7], v[6:7], s[60:61]                      // 00000000A654: D3B14006 18007906
	v_exp_f32_e32 v4, v4                                       // 00000000A65C: 7E084104
	v_exp_f32_e32 v5, v5                                       // 00000000A660: 7E0A4105
	v_exp_f32_e32 v6, v6                                       // 00000000A664: 7E0C4106
	v_exp_f32_e32 v7, v7                                       // 00000000A668: 7E0E4107
	v_add_f32_e64 v4, v4, 1.0                                  // 00000000A66C: D1010004 0001E504
	v_add_f32_e64 v5, v5, 1.0                                  // 00000000A674: D1010005 0001E505
	v_add_f32_e64 v6, v6, 1.0                                  // 00000000A67C: D1010006 0001E506
	v_add_f32_e64 v7, v7, 1.0                                  // 00000000A684: D1010007 0001E507
	v_rcp_f32_e32 v4, v4                                       // 00000000A68C: 7E084504
	v_rcp_f32_e32 v5, v5                                       // 00000000A690: 7E0A4505
	v_rcp_f32_e32 v6, v6                                       // 00000000A694: 7E0C4506
	v_rcp_f32_e32 v7, v7                                       // 00000000A698: 7E0E4507
	v_mul_f32_e32 v100, v100, v4                               // 00000000A69C: 0AC80964
	v_mul_f32_e32 v101, v101, v5                               // 00000000A6A0: 0ACA0B65
	v_mul_f32_e32 v102, v102, v6                               // 00000000A6A4: 0ACC0D66
	v_mul_f32_e32 v103, v103, v7                               // 00000000A6A8: 0ACE0F67
	v_mul_f32_e32 v100, v100, v156                             // 00000000A6AC: 0AC93964
	v_mul_f32_e32 v101, v101, v157                             // 00000000A6B0: 0ACB3B65
	v_mul_f32_e32 v102, v102, v158                             // 00000000A6B4: 0ACD3D66
	v_mul_f32_e32 v103, v103, v159                             // 00000000A6B8: 0ACF3F67
	v_pk_mul_f32 v[4:5], v[104:105], v[104:105]                // 00000000A6BC: D3B14004 1802D168
	v_pk_mul_f32 v[6:7], v[106:107], v[106:107]                // 00000000A6C4: D3B14006 1802D56A
	v_pk_fma_f32 v[4:5], v[4:5], s[78:79], v[8:9]              // 00000000A6CC: D3B04004 1C209D04
	v_pk_fma_f32 v[6:7], v[6:7], s[78:79], v[8:9]              // 00000000A6D4: D3B04006 1C209D06
	v_pk_mul_f32 v[4:5], v[4:5], v[104:105]                    // 00000000A6DC: D3B14004 1802D104
	v_pk_mul_f32 v[6:7], v[6:7], v[106:107]                    // 00000000A6E4: D3B14006 1802D506
	v_pk_mul_f32 v[4:5], v[4:5], s[60:61]                      // 00000000A6EC: D3B14004 18007904
	v_pk_mul_f32 v[6:7], v[6:7], s[60:61]                      // 00000000A6F4: D3B14006 18007906
	v_exp_f32_e32 v4, v4                                       // 00000000A6FC: 7E084104
	v_exp_f32_e32 v5, v5                                       // 00000000A700: 7E0A4105
	v_exp_f32_e32 v6, v6                                       // 00000000A704: 7E0C4106
	v_exp_f32_e32 v7, v7                                       // 00000000A708: 7E0E4107
	v_add_f32_e64 v4, v4, 1.0                                  // 00000000A70C: D1010004 0001E504
	v_add_f32_e64 v5, v5, 1.0                                  // 00000000A714: D1010005 0001E505
	v_add_f32_e64 v6, v6, 1.0                                  // 00000000A71C: D1010006 0001E506
	v_add_f32_e64 v7, v7, 1.0                                  // 00000000A724: D1010007 0001E507
	v_rcp_f32_e32 v4, v4                                       // 00000000A72C: 7E084504
	v_rcp_f32_e32 v5, v5                                       // 00000000A730: 7E0A4505
	v_rcp_f32_e32 v6, v6                                       // 00000000A734: 7E0C4506
	v_rcp_f32_e32 v7, v7                                       // 00000000A738: 7E0E4507
	v_mul_f32_e32 v104, v104, v4                               // 00000000A73C: 0AD00968
	v_mul_f32_e32 v105, v105, v5                               // 00000000A740: 0AD20B69
	v_mul_f32_e32 v106, v106, v6                               // 00000000A744: 0AD40D6A
	v_mul_f32_e32 v107, v107, v7                               // 00000000A748: 0AD60F6B
	v_mul_f32_e32 v104, v104, v160                             // 00000000A74C: 0AD14168
	v_mul_f32_e32 v105, v105, v161                             // 00000000A750: 0AD34369
	v_mul_f32_e32 v106, v106, v162                             // 00000000A754: 0AD5456A
	v_mul_f32_e32 v107, v107, v163                             // 00000000A758: 0AD7476B
	v_pk_mul_f32 v[4:5], v[108:109], v[108:109]                // 00000000A75C: D3B14004 1802D96C
	v_pk_mul_f32 v[6:7], v[110:111], v[110:111]                // 00000000A764: D3B14006 1802DD6E
	v_pk_fma_f32 v[4:5], v[4:5], s[78:79], v[8:9]              // 00000000A76C: D3B04004 1C209D04
	v_pk_fma_f32 v[6:7], v[6:7], s[78:79], v[8:9]              // 00000000A774: D3B04006 1C209D06
	v_pk_mul_f32 v[4:5], v[4:5], v[108:109]                    // 00000000A77C: D3B14004 1802D904
	v_pk_mul_f32 v[6:7], v[6:7], v[110:111]                    // 00000000A784: D3B14006 1802DD06
	v_pk_mul_f32 v[4:5], v[4:5], s[60:61]                      // 00000000A78C: D3B14004 18007904
	v_pk_mul_f32 v[6:7], v[6:7], s[60:61]                      // 00000000A794: D3B14006 18007906
	v_exp_f32_e32 v4, v4                                       // 00000000A79C: 7E084104
	v_exp_f32_e32 v5, v5                                       // 00000000A7A0: 7E0A4105
	v_exp_f32_e32 v6, v6                                       // 00000000A7A4: 7E0C4106
	v_exp_f32_e32 v7, v7                                       // 00000000A7A8: 7E0E4107
	v_add_f32_e64 v4, v4, 1.0                                  // 00000000A7AC: D1010004 0001E504
	v_add_f32_e64 v5, v5, 1.0                                  // 00000000A7B4: D1010005 0001E505
	v_add_f32_e64 v6, v6, 1.0                                  // 00000000A7BC: D1010006 0001E506
	v_add_f32_e64 v7, v7, 1.0                                  // 00000000A7C4: D1010007 0001E507
	v_rcp_f32_e32 v4, v4                                       // 00000000A7CC: 7E084504
	v_rcp_f32_e32 v5, v5                                       // 00000000A7D0: 7E0A4505
	v_rcp_f32_e32 v6, v6                                       // 00000000A7D4: 7E0C4506
	v_rcp_f32_e32 v7, v7                                       // 00000000A7D8: 7E0E4507
	v_mul_f32_e32 v108, v108, v4                               // 00000000A7DC: 0AD8096C
	v_mul_f32_e32 v109, v109, v5                               // 00000000A7E0: 0ADA0B6D
	v_mul_f32_e32 v110, v110, v6                               // 00000000A7E4: 0ADC0D6E
	v_mul_f32_e32 v111, v111, v7                               // 00000000A7E8: 0ADE0F6F
	v_mul_f32_e32 v108, v108, v164                             // 00000000A7EC: 0AD9496C
	v_mul_f32_e32 v109, v109, v165                             // 00000000A7F0: 0ADB4B6D
	v_mul_f32_e32 v110, v110, v166                             // 00000000A7F4: 0ADD4D6E
	v_mul_f32_e32 v111, v111, v167                             // 00000000A7F8: 0ADF4F6F
	v_pk_mul_f32 v[4:5], v[112:113], v[112:113]                // 00000000A7FC: D3B14004 1802E170
	v_pk_mul_f32 v[6:7], v[114:115], v[114:115]                // 00000000A804: D3B14006 1802E572
	v_pk_fma_f32 v[4:5], v[4:5], s[78:79], v[8:9]              // 00000000A80C: D3B04004 1C209D04
	v_pk_fma_f32 v[6:7], v[6:7], s[78:79], v[8:9]              // 00000000A814: D3B04006 1C209D06
	v_pk_mul_f32 v[4:5], v[4:5], v[112:113]                    // 00000000A81C: D3B14004 1802E104
	v_pk_mul_f32 v[6:7], v[6:7], v[114:115]                    // 00000000A824: D3B14006 1802E506
	v_pk_mul_f32 v[4:5], v[4:5], s[60:61]                      // 00000000A82C: D3B14004 18007904
	v_pk_mul_f32 v[6:7], v[6:7], s[60:61]                      // 00000000A834: D3B14006 18007906
	v_exp_f32_e32 v4, v4                                       // 00000000A83C: 7E084104
	v_exp_f32_e32 v5, v5                                       // 00000000A840: 7E0A4105
	v_exp_f32_e32 v6, v6                                       // 00000000A844: 7E0C4106
	v_exp_f32_e32 v7, v7                                       // 00000000A848: 7E0E4107
	v_add_f32_e64 v4, v4, 1.0                                  // 00000000A84C: D1010004 0001E504
	v_add_f32_e64 v5, v5, 1.0                                  // 00000000A854: D1010005 0001E505
	v_add_f32_e64 v6, v6, 1.0                                  // 00000000A85C: D1010006 0001E506
	v_add_f32_e64 v7, v7, 1.0                                  // 00000000A864: D1010007 0001E507
	v_rcp_f32_e32 v4, v4                                       // 00000000A86C: 7E084504
	v_rcp_f32_e32 v5, v5                                       // 00000000A870: 7E0A4505
	v_rcp_f32_e32 v6, v6                                       // 00000000A874: 7E0C4506
	v_rcp_f32_e32 v7, v7                                       // 00000000A878: 7E0E4507
	v_mul_f32_e32 v112, v112, v4                               // 00000000A87C: 0AE00970
	v_mul_f32_e32 v113, v113, v5                               // 00000000A880: 0AE20B71
	v_mul_f32_e32 v114, v114, v6                               // 00000000A884: 0AE40D72
	v_mul_f32_e32 v115, v115, v7                               // 00000000A888: 0AE60F73
	v_mul_f32_e32 v112, v112, v168                             // 00000000A88C: 0AE15170
	v_mul_f32_e32 v113, v113, v169                             // 00000000A890: 0AE35371
	v_mul_f32_e32 v114, v114, v170                             // 00000000A894: 0AE55572
	v_mul_f32_e32 v115, v115, v171                             // 00000000A898: 0AE75773
	v_pk_mul_f32 v[4:5], v[116:117], v[116:117]                // 00000000A89C: D3B14004 1802E974
	v_pk_mul_f32 v[6:7], v[118:119], v[118:119]                // 00000000A8A4: D3B14006 1802ED76
	v_pk_fma_f32 v[4:5], v[4:5], s[78:79], v[8:9]              // 00000000A8AC: D3B04004 1C209D04
	v_pk_fma_f32 v[6:7], v[6:7], s[78:79], v[8:9]              // 00000000A8B4: D3B04006 1C209D06
	v_pk_mul_f32 v[4:5], v[4:5], v[116:117]                    // 00000000A8BC: D3B14004 1802E904
	v_pk_mul_f32 v[6:7], v[6:7], v[118:119]                    // 00000000A8C4: D3B14006 1802ED06
	v_pk_mul_f32 v[4:5], v[4:5], s[60:61]                      // 00000000A8CC: D3B14004 18007904
	v_pk_mul_f32 v[6:7], v[6:7], s[60:61]                      // 00000000A8D4: D3B14006 18007906
	v_exp_f32_e32 v4, v4                                       // 00000000A8DC: 7E084104
	v_exp_f32_e32 v5, v5                                       // 00000000A8E0: 7E0A4105
	v_exp_f32_e32 v6, v6                                       // 00000000A8E4: 7E0C4106
	v_exp_f32_e32 v7, v7                                       // 00000000A8E8: 7E0E4107
	v_add_f32_e64 v4, v4, 1.0                                  // 00000000A8EC: D1010004 0001E504
	v_add_f32_e64 v5, v5, 1.0                                  // 00000000A8F4: D1010005 0001E505
	v_add_f32_e64 v6, v6, 1.0                                  // 00000000A8FC: D1010006 0001E506
	v_add_f32_e64 v7, v7, 1.0                                  // 00000000A904: D1010007 0001E507
	v_rcp_f32_e32 v4, v4                                       // 00000000A90C: 7E084504
	v_rcp_f32_e32 v5, v5                                       // 00000000A910: 7E0A4505
	v_rcp_f32_e32 v6, v6                                       // 00000000A914: 7E0C4506
	v_rcp_f32_e32 v7, v7                                       // 00000000A918: 7E0E4507
	v_mul_f32_e32 v116, v116, v4                               // 00000000A91C: 0AE80974
	v_mul_f32_e32 v117, v117, v5                               // 00000000A920: 0AEA0B75
	v_mul_f32_e32 v118, v118, v6                               // 00000000A924: 0AEC0D76
	v_mul_f32_e32 v119, v119, v7                               // 00000000A928: 0AEE0F77
	v_mul_f32_e32 v116, v116, v172                             // 00000000A92C: 0AE95974
	v_mul_f32_e32 v117, v117, v173                             // 00000000A930: 0AEB5B75
	v_mul_f32_e32 v118, v118, v174                             // 00000000A934: 0AED5D76
	v_mul_f32_e32 v119, v119, v175                             // 00000000A938: 0AEF5F77
	v_pk_mul_f32 v[4:5], v[120:121], v[120:121]                // 00000000A93C: D3B14004 1802F178
	v_pk_mul_f32 v[6:7], v[122:123], v[122:123]                // 00000000A944: D3B14006 1802F57A
	v_pk_fma_f32 v[4:5], v[4:5], s[78:79], v[8:9]              // 00000000A94C: D3B04004 1C209D04
	v_pk_fma_f32 v[6:7], v[6:7], s[78:79], v[8:9]              // 00000000A954: D3B04006 1C209D06
	v_pk_mul_f32 v[4:5], v[4:5], v[120:121]                    // 00000000A95C: D3B14004 1802F104
	v_pk_mul_f32 v[6:7], v[6:7], v[122:123]                    // 00000000A964: D3B14006 1802F506
	v_pk_mul_f32 v[4:5], v[4:5], s[60:61]                      // 00000000A96C: D3B14004 18007904
	v_pk_mul_f32 v[6:7], v[6:7], s[60:61]                      // 00000000A974: D3B14006 18007906
	v_exp_f32_e32 v4, v4                                       // 00000000A97C: 7E084104
	v_exp_f32_e32 v5, v5                                       // 00000000A980: 7E0A4105
	v_exp_f32_e32 v6, v6                                       // 00000000A984: 7E0C4106
	v_exp_f32_e32 v7, v7                                       // 00000000A988: 7E0E4107
	v_add_f32_e64 v4, v4, 1.0                                  // 00000000A98C: D1010004 0001E504
	v_add_f32_e64 v5, v5, 1.0                                  // 00000000A994: D1010005 0001E505
	v_add_f32_e64 v6, v6, 1.0                                  // 00000000A99C: D1010006 0001E506
	v_add_f32_e64 v7, v7, 1.0                                  // 00000000A9A4: D1010007 0001E507
	v_rcp_f32_e32 v4, v4                                       // 00000000A9AC: 7E084504
	v_rcp_f32_e32 v5, v5                                       // 00000000A9B0: 7E0A4505
	v_rcp_f32_e32 v6, v6                                       // 00000000A9B4: 7E0C4506
	v_rcp_f32_e32 v7, v7                                       // 00000000A9B8: 7E0E4507
	v_mul_f32_e32 v120, v120, v4                               // 00000000A9BC: 0AF00978
	v_mul_f32_e32 v121, v121, v5                               // 00000000A9C0: 0AF20B79
	v_mul_f32_e32 v122, v122, v6                               // 00000000A9C4: 0AF40D7A
	v_mul_f32_e32 v123, v123, v7                               // 00000000A9C8: 0AF60F7B
	v_mul_f32_e32 v120, v120, v176                             // 00000000A9CC: 0AF16178
	v_mul_f32_e32 v121, v121, v177                             // 00000000A9D0: 0AF36379
	v_mul_f32_e32 v122, v122, v178                             // 00000000A9D4: 0AF5657A
	v_mul_f32_e32 v123, v123, v179                             // 00000000A9D8: 0AF7677B
	v_pk_mul_f32 v[4:5], v[124:125], v[124:125]                // 00000000A9DC: D3B14004 1802F97C
	v_pk_mul_f32 v[6:7], v[126:127], v[126:127]                // 00000000A9E4: D3B14006 1802FD7E
	v_pk_fma_f32 v[4:5], v[4:5], s[78:79], v[8:9]              // 00000000A9EC: D3B04004 1C209D04
	v_pk_fma_f32 v[6:7], v[6:7], s[78:79], v[8:9]              // 00000000A9F4: D3B04006 1C209D06
	v_pk_mul_f32 v[4:5], v[4:5], v[124:125]                    // 00000000A9FC: D3B14004 1802F904
	v_pk_mul_f32 v[6:7], v[6:7], v[126:127]                    // 00000000AA04: D3B14006 1802FD06
	v_pk_mul_f32 v[4:5], v[4:5], s[60:61]                      // 00000000AA0C: D3B14004 18007904
	v_pk_mul_f32 v[6:7], v[6:7], s[60:61]                      // 00000000AA14: D3B14006 18007906
	v_exp_f32_e32 v4, v4                                       // 00000000AA1C: 7E084104
	v_exp_f32_e32 v5, v5                                       // 00000000AA20: 7E0A4105
	v_exp_f32_e32 v6, v6                                       // 00000000AA24: 7E0C4106
	v_exp_f32_e32 v7, v7                                       // 00000000AA28: 7E0E4107
	v_add_f32_e64 v4, v4, 1.0                                  // 00000000AA2C: D1010004 0001E504
	v_add_f32_e64 v5, v5, 1.0                                  // 00000000AA34: D1010005 0001E505
	v_add_f32_e64 v6, v6, 1.0                                  // 00000000AA3C: D1010006 0001E506
	v_add_f32_e64 v7, v7, 1.0                                  // 00000000AA44: D1010007 0001E507
	v_rcp_f32_e32 v4, v4                                       // 00000000AA4C: 7E084504
	v_rcp_f32_e32 v5, v5                                       // 00000000AA50: 7E0A4505
	v_rcp_f32_e32 v6, v6                                       // 00000000AA54: 7E0C4506
	v_rcp_f32_e32 v7, v7                                       // 00000000AA58: 7E0E4507
	v_mul_f32_e32 v124, v124, v4                               // 00000000AA5C: 0AF8097C
	v_mul_f32_e32 v125, v125, v5                               // 00000000AA60: 0AFA0B7D
	v_mul_f32_e32 v126, v126, v6                               // 00000000AA64: 0AFC0D7E
	v_mul_f32_e32 v127, v127, v7                               // 00000000AA68: 0AFE0F7F
	v_mul_f32_e32 v124, v124, v180                             // 00000000AA6C: 0AF9697C
	v_mul_f32_e32 v125, v125, v181                             // 00000000AA70: 0AFB6B7D
	v_mul_f32_e32 v126, v126, v182                             // 00000000AA74: 0AFD6D7E
	v_mul_f32_e32 v127, v127, v183                             // 00000000AA78: 0AFF6F7F
	s_branch label_21E3                                        // 00000000AA7C: BF8201C0

000000000000aa80 <label_2023>:
	v_mul_f32_e64 v4, -v72, s6                                 // 00000000AA80: D1050004 20000D48
	v_mul_f32_e64 v5, -v73, s6                                 // 00000000AA88: D1050005 20000D49
	v_mul_f32_e64 v6, -v74, s6                                 // 00000000AA90: D1050006 20000D4A
	v_mul_f32_e64 v7, -v75, s6                                 // 00000000AA98: D1050007 20000D4B
	v_exp_f32_e32 v4, v4                                       // 00000000AAA0: 7E084104
	v_exp_f32_e32 v5, v5                                       // 00000000AAA4: 7E0A4105
	v_exp_f32_e32 v6, v6                                       // 00000000AAA8: 7E0C4106
	v_exp_f32_e32 v7, v7                                       // 00000000AAAC: 7E0E4107
	v_add_f32_e64 v4, v4, 1.0                                  // 00000000AAB0: D1010004 0001E504
	v_add_f32_e64 v5, v5, 1.0                                  // 00000000AAB8: D1010005 0001E505
	v_add_f32_e64 v6, v6, 1.0                                  // 00000000AAC0: D1010006 0001E506
	v_add_f32_e64 v7, v7, 1.0                                  // 00000000AAC8: D1010007 0001E507
	v_rcp_f32_e32 v4, v4                                       // 00000000AAD0: 7E084504
	v_rcp_f32_e32 v5, v5                                       // 00000000AAD4: 7E0A4505
	v_rcp_f32_e32 v6, v6                                       // 00000000AAD8: 7E0C4506
	v_rcp_f32_e32 v7, v7                                       // 00000000AADC: 7E0E4507
	v_mul_f32_e32 v72, v72, v4                                 // 00000000AAE0: 0A900948
	v_mul_f32_e32 v73, v73, v5                                 // 00000000AAE4: 0A920B49
	v_mul_f32_e32 v74, v74, v6                                 // 00000000AAE8: 0A940D4A
	v_mul_f32_e32 v75, v75, v7                                 // 00000000AAEC: 0A960F4B
	v_mul_f32_e32 v72, v72, v128                               // 00000000AAF0: 0A910148
	v_mul_f32_e32 v73, v73, v129                               // 00000000AAF4: 0A930349
	v_mul_f32_e32 v74, v74, v130                               // 00000000AAF8: 0A95054A
	v_mul_f32_e32 v75, v75, v131                               // 00000000AAFC: 0A97074B
	v_mul_f32_e64 v4, -v76, s6                                 // 00000000AB00: D1050004 20000D4C
	v_mul_f32_e64 v5, -v77, s6                                 // 00000000AB08: D1050005 20000D4D
	v_mul_f32_e64 v6, -v78, s6                                 // 00000000AB10: D1050006 20000D4E
	v_mul_f32_e64 v7, -v79, s6                                 // 00000000AB18: D1050007 20000D4F
	v_exp_f32_e32 v4, v4                                       // 00000000AB20: 7E084104
	v_exp_f32_e32 v5, v5                                       // 00000000AB24: 7E0A4105
	v_exp_f32_e32 v6, v6                                       // 00000000AB28: 7E0C4106
	v_exp_f32_e32 v7, v7                                       // 00000000AB2C: 7E0E4107
	v_add_f32_e64 v4, v4, 1.0                                  // 00000000AB30: D1010004 0001E504
	v_add_f32_e64 v5, v5, 1.0                                  // 00000000AB38: D1010005 0001E505
	v_add_f32_e64 v6, v6, 1.0                                  // 00000000AB40: D1010006 0001E506
	v_add_f32_e64 v7, v7, 1.0                                  // 00000000AB48: D1010007 0001E507
	v_rcp_f32_e32 v4, v4                                       // 00000000AB50: 7E084504
	v_rcp_f32_e32 v5, v5                                       // 00000000AB54: 7E0A4505
	v_rcp_f32_e32 v6, v6                                       // 00000000AB58: 7E0C4506
	v_rcp_f32_e32 v7, v7                                       // 00000000AB5C: 7E0E4507
	v_mul_f32_e32 v76, v76, v4                                 // 00000000AB60: 0A98094C
	v_mul_f32_e32 v77, v77, v5                                 // 00000000AB64: 0A9A0B4D
	v_mul_f32_e32 v78, v78, v6                                 // 00000000AB68: 0A9C0D4E
	v_mul_f32_e32 v79, v79, v7                                 // 00000000AB6C: 0A9E0F4F
	v_mul_f32_e32 v76, v76, v132                               // 00000000AB70: 0A99094C
	v_mul_f32_e32 v77, v77, v133                               // 00000000AB74: 0A9B0B4D
	v_mul_f32_e32 v78, v78, v134                               // 00000000AB78: 0A9D0D4E
	v_mul_f32_e32 v79, v79, v135                               // 00000000AB7C: 0A9F0F4F
	v_mul_f32_e64 v4, -v80, s6                                 // 00000000AB80: D1050004 20000D50
	v_mul_f32_e64 v5, -v81, s6                                 // 00000000AB88: D1050005 20000D51
	v_mul_f32_e64 v6, -v82, s6                                 // 00000000AB90: D1050006 20000D52
	v_mul_f32_e64 v7, -v83, s6                                 // 00000000AB98: D1050007 20000D53
	v_exp_f32_e32 v4, v4                                       // 00000000ABA0: 7E084104
	v_exp_f32_e32 v5, v5                                       // 00000000ABA4: 7E0A4105
	v_exp_f32_e32 v6, v6                                       // 00000000ABA8: 7E0C4106
	v_exp_f32_e32 v7, v7                                       // 00000000ABAC: 7E0E4107
	v_add_f32_e64 v4, v4, 1.0                                  // 00000000ABB0: D1010004 0001E504
	v_add_f32_e64 v5, v5, 1.0                                  // 00000000ABB8: D1010005 0001E505
	v_add_f32_e64 v6, v6, 1.0                                  // 00000000ABC0: D1010006 0001E506
	v_add_f32_e64 v7, v7, 1.0                                  // 00000000ABC8: D1010007 0001E507
	v_rcp_f32_e32 v4, v4                                       // 00000000ABD0: 7E084504
	v_rcp_f32_e32 v5, v5                                       // 00000000ABD4: 7E0A4505
	v_rcp_f32_e32 v6, v6                                       // 00000000ABD8: 7E0C4506
	v_rcp_f32_e32 v7, v7                                       // 00000000ABDC: 7E0E4507
	v_mul_f32_e32 v80, v80, v4                                 // 00000000ABE0: 0AA00950
	v_mul_f32_e32 v81, v81, v5                                 // 00000000ABE4: 0AA20B51
	v_mul_f32_e32 v82, v82, v6                                 // 00000000ABE8: 0AA40D52
	v_mul_f32_e32 v83, v83, v7                                 // 00000000ABEC: 0AA60F53
	v_mul_f32_e32 v80, v80, v136                               // 00000000ABF0: 0AA11150
	v_mul_f32_e32 v81, v81, v137                               // 00000000ABF4: 0AA31351
	v_mul_f32_e32 v82, v82, v138                               // 00000000ABF8: 0AA51552
	v_mul_f32_e32 v83, v83, v139                               // 00000000ABFC: 0AA71753
	v_mul_f32_e64 v4, -v84, s6                                 // 00000000AC00: D1050004 20000D54
	v_mul_f32_e64 v5, -v85, s6                                 // 00000000AC08: D1050005 20000D55
	v_mul_f32_e64 v6, -v86, s6                                 // 00000000AC10: D1050006 20000D56
	v_mul_f32_e64 v7, -v87, s6                                 // 00000000AC18: D1050007 20000D57
	v_exp_f32_e32 v4, v4                                       // 00000000AC20: 7E084104
	v_exp_f32_e32 v5, v5                                       // 00000000AC24: 7E0A4105
	v_exp_f32_e32 v6, v6                                       // 00000000AC28: 7E0C4106
	v_exp_f32_e32 v7, v7                                       // 00000000AC2C: 7E0E4107
	v_add_f32_e64 v4, v4, 1.0                                  // 00000000AC30: D1010004 0001E504
	v_add_f32_e64 v5, v5, 1.0                                  // 00000000AC38: D1010005 0001E505
	v_add_f32_e64 v6, v6, 1.0                                  // 00000000AC40: D1010006 0001E506
	v_add_f32_e64 v7, v7, 1.0                                  // 00000000AC48: D1010007 0001E507
	v_rcp_f32_e32 v4, v4                                       // 00000000AC50: 7E084504
	v_rcp_f32_e32 v5, v5                                       // 00000000AC54: 7E0A4505
	v_rcp_f32_e32 v6, v6                                       // 00000000AC58: 7E0C4506
	v_rcp_f32_e32 v7, v7                                       // 00000000AC5C: 7E0E4507
	v_mul_f32_e32 v84, v84, v4                                 // 00000000AC60: 0AA80954
	v_mul_f32_e32 v85, v85, v5                                 // 00000000AC64: 0AAA0B55
	v_mul_f32_e32 v86, v86, v6                                 // 00000000AC68: 0AAC0D56
	v_mul_f32_e32 v87, v87, v7                                 // 00000000AC6C: 0AAE0F57
	v_mul_f32_e32 v84, v84, v140                               // 00000000AC70: 0AA91954
	v_mul_f32_e32 v85, v85, v141                               // 00000000AC74: 0AAB1B55
	v_mul_f32_e32 v86, v86, v142                               // 00000000AC78: 0AAD1D56
	v_mul_f32_e32 v87, v87, v143                               // 00000000AC7C: 0AAF1F57
	v_mul_f32_e64 v4, -v88, s6                                 // 00000000AC80: D1050004 20000D58
	v_mul_f32_e64 v5, -v89, s6                                 // 00000000AC88: D1050005 20000D59
	v_mul_f32_e64 v6, -v90, s6                                 // 00000000AC90: D1050006 20000D5A
	v_mul_f32_e64 v7, -v91, s6                                 // 00000000AC98: D1050007 20000D5B
	v_exp_f32_e32 v4, v4                                       // 00000000ACA0: 7E084104
	v_exp_f32_e32 v5, v5                                       // 00000000ACA4: 7E0A4105
	v_exp_f32_e32 v6, v6                                       // 00000000ACA8: 7E0C4106
	v_exp_f32_e32 v7, v7                                       // 00000000ACAC: 7E0E4107
	v_add_f32_e64 v4, v4, 1.0                                  // 00000000ACB0: D1010004 0001E504
	v_add_f32_e64 v5, v5, 1.0                                  // 00000000ACB8: D1010005 0001E505
	v_add_f32_e64 v6, v6, 1.0                                  // 00000000ACC0: D1010006 0001E506
	v_add_f32_e64 v7, v7, 1.0                                  // 00000000ACC8: D1010007 0001E507
	v_rcp_f32_e32 v4, v4                                       // 00000000ACD0: 7E084504
	v_rcp_f32_e32 v5, v5                                       // 00000000ACD4: 7E0A4505
	v_rcp_f32_e32 v6, v6                                       // 00000000ACD8: 7E0C4506
	v_rcp_f32_e32 v7, v7                                       // 00000000ACDC: 7E0E4507
	v_mul_f32_e32 v88, v88, v4                                 // 00000000ACE0: 0AB00958
	v_mul_f32_e32 v89, v89, v5                                 // 00000000ACE4: 0AB20B59
	v_mul_f32_e32 v90, v90, v6                                 // 00000000ACE8: 0AB40D5A
	v_mul_f32_e32 v91, v91, v7                                 // 00000000ACEC: 0AB60F5B
	v_mul_f32_e32 v88, v88, v144                               // 00000000ACF0: 0AB12158
	v_mul_f32_e32 v89, v89, v145                               // 00000000ACF4: 0AB32359
	v_mul_f32_e32 v90, v90, v146                               // 00000000ACF8: 0AB5255A
	v_mul_f32_e32 v91, v91, v147                               // 00000000ACFC: 0AB7275B
	v_mul_f32_e64 v4, -v92, s6                                 // 00000000AD00: D1050004 20000D5C
	v_mul_f32_e64 v5, -v93, s6                                 // 00000000AD08: D1050005 20000D5D
	v_mul_f32_e64 v6, -v94, s6                                 // 00000000AD10: D1050006 20000D5E
	v_mul_f32_e64 v7, -v95, s6                                 // 00000000AD18: D1050007 20000D5F
	v_exp_f32_e32 v4, v4                                       // 00000000AD20: 7E084104
	v_exp_f32_e32 v5, v5                                       // 00000000AD24: 7E0A4105
	v_exp_f32_e32 v6, v6                                       // 00000000AD28: 7E0C4106
	v_exp_f32_e32 v7, v7                                       // 00000000AD2C: 7E0E4107
	v_add_f32_e64 v4, v4, 1.0                                  // 00000000AD30: D1010004 0001E504
	v_add_f32_e64 v5, v5, 1.0                                  // 00000000AD38: D1010005 0001E505
	v_add_f32_e64 v6, v6, 1.0                                  // 00000000AD40: D1010006 0001E506
	v_add_f32_e64 v7, v7, 1.0                                  // 00000000AD48: D1010007 0001E507
	v_rcp_f32_e32 v4, v4                                       // 00000000AD50: 7E084504
	v_rcp_f32_e32 v5, v5                                       // 00000000AD54: 7E0A4505
	v_rcp_f32_e32 v6, v6                                       // 00000000AD58: 7E0C4506
	v_rcp_f32_e32 v7, v7                                       // 00000000AD5C: 7E0E4507
	v_mul_f32_e32 v92, v92, v4                                 // 00000000AD60: 0AB8095C
	v_mul_f32_e32 v93, v93, v5                                 // 00000000AD64: 0ABA0B5D
	v_mul_f32_e32 v94, v94, v6                                 // 00000000AD68: 0ABC0D5E
	v_mul_f32_e32 v95, v95, v7                                 // 00000000AD6C: 0ABE0F5F
	v_mul_f32_e32 v92, v92, v148                               // 00000000AD70: 0AB9295C
	v_mul_f32_e32 v93, v93, v149                               // 00000000AD74: 0ABB2B5D
	v_mul_f32_e32 v94, v94, v150                               // 00000000AD78: 0ABD2D5E
	v_mul_f32_e32 v95, v95, v151                               // 00000000AD7C: 0ABF2F5F
	v_mul_f32_e64 v4, -v96, s6                                 // 00000000AD80: D1050004 20000D60
	v_mul_f32_e64 v5, -v97, s6                                 // 00000000AD88: D1050005 20000D61
	v_mul_f32_e64 v6, -v98, s6                                 // 00000000AD90: D1050006 20000D62
	v_mul_f32_e64 v7, -v99, s6                                 // 00000000AD98: D1050007 20000D63
	v_exp_f32_e32 v4, v4                                       // 00000000ADA0: 7E084104
	v_exp_f32_e32 v5, v5                                       // 00000000ADA4: 7E0A4105
	v_exp_f32_e32 v6, v6                                       // 00000000ADA8: 7E0C4106
	v_exp_f32_e32 v7, v7                                       // 00000000ADAC: 7E0E4107
	v_add_f32_e64 v4, v4, 1.0                                  // 00000000ADB0: D1010004 0001E504
	v_add_f32_e64 v5, v5, 1.0                                  // 00000000ADB8: D1010005 0001E505
	v_add_f32_e64 v6, v6, 1.0                                  // 00000000ADC0: D1010006 0001E506
	v_add_f32_e64 v7, v7, 1.0                                  // 00000000ADC8: D1010007 0001E507
	v_rcp_f32_e32 v4, v4                                       // 00000000ADD0: 7E084504
	v_rcp_f32_e32 v5, v5                                       // 00000000ADD4: 7E0A4505
	v_rcp_f32_e32 v6, v6                                       // 00000000ADD8: 7E0C4506
	v_rcp_f32_e32 v7, v7                                       // 00000000ADDC: 7E0E4507
	v_mul_f32_e32 v96, v96, v4                                 // 00000000ADE0: 0AC00960
	v_mul_f32_e32 v97, v97, v5                                 // 00000000ADE4: 0AC20B61
	v_mul_f32_e32 v98, v98, v6                                 // 00000000ADE8: 0AC40D62
	v_mul_f32_e32 v99, v99, v7                                 // 00000000ADEC: 0AC60F63
	v_mul_f32_e32 v96, v96, v152                               // 00000000ADF0: 0AC13160
	v_mul_f32_e32 v97, v97, v153                               // 00000000ADF4: 0AC33361
	v_mul_f32_e32 v98, v98, v154                               // 00000000ADF8: 0AC53562
	v_mul_f32_e32 v99, v99, v155                               // 00000000ADFC: 0AC73763
	v_mul_f32_e64 v4, -v100, s6                                // 00000000AE00: D1050004 20000D64
	v_mul_f32_e64 v5, -v101, s6                                // 00000000AE08: D1050005 20000D65
	v_mul_f32_e64 v6, -v102, s6                                // 00000000AE10: D1050006 20000D66
	v_mul_f32_e64 v7, -v103, s6                                // 00000000AE18: D1050007 20000D67
	v_exp_f32_e32 v4, v4                                       // 00000000AE20: 7E084104
	v_exp_f32_e32 v5, v5                                       // 00000000AE24: 7E0A4105
	v_exp_f32_e32 v6, v6                                       // 00000000AE28: 7E0C4106
	v_exp_f32_e32 v7, v7                                       // 00000000AE2C: 7E0E4107
	v_add_f32_e64 v4, v4, 1.0                                  // 00000000AE30: D1010004 0001E504
	v_add_f32_e64 v5, v5, 1.0                                  // 00000000AE38: D1010005 0001E505
	v_add_f32_e64 v6, v6, 1.0                                  // 00000000AE40: D1010006 0001E506
	v_add_f32_e64 v7, v7, 1.0                                  // 00000000AE48: D1010007 0001E507
	v_rcp_f32_e32 v4, v4                                       // 00000000AE50: 7E084504
	v_rcp_f32_e32 v5, v5                                       // 00000000AE54: 7E0A4505
	v_rcp_f32_e32 v6, v6                                       // 00000000AE58: 7E0C4506
	v_rcp_f32_e32 v7, v7                                       // 00000000AE5C: 7E0E4507
	v_mul_f32_e32 v100, v100, v4                               // 00000000AE60: 0AC80964
	v_mul_f32_e32 v101, v101, v5                               // 00000000AE64: 0ACA0B65
	v_mul_f32_e32 v102, v102, v6                               // 00000000AE68: 0ACC0D66
	v_mul_f32_e32 v103, v103, v7                               // 00000000AE6C: 0ACE0F67
	v_mul_f32_e32 v100, v100, v156                             // 00000000AE70: 0AC93964
	v_mul_f32_e32 v101, v101, v157                             // 00000000AE74: 0ACB3B65
	v_mul_f32_e32 v102, v102, v158                             // 00000000AE78: 0ACD3D66
	v_mul_f32_e32 v103, v103, v159                             // 00000000AE7C: 0ACF3F67
	v_mul_f32_e64 v4, -v104, s6                                // 00000000AE80: D1050004 20000D68
	v_mul_f32_e64 v5, -v105, s6                                // 00000000AE88: D1050005 20000D69
	v_mul_f32_e64 v6, -v106, s6                                // 00000000AE90: D1050006 20000D6A
	v_mul_f32_e64 v7, -v107, s6                                // 00000000AE98: D1050007 20000D6B
	v_exp_f32_e32 v4, v4                                       // 00000000AEA0: 7E084104
	v_exp_f32_e32 v5, v5                                       // 00000000AEA4: 7E0A4105
	v_exp_f32_e32 v6, v6                                       // 00000000AEA8: 7E0C4106
	v_exp_f32_e32 v7, v7                                       // 00000000AEAC: 7E0E4107
	v_add_f32_e64 v4, v4, 1.0                                  // 00000000AEB0: D1010004 0001E504
	v_add_f32_e64 v5, v5, 1.0                                  // 00000000AEB8: D1010005 0001E505
	v_add_f32_e64 v6, v6, 1.0                                  // 00000000AEC0: D1010006 0001E506
	v_add_f32_e64 v7, v7, 1.0                                  // 00000000AEC8: D1010007 0001E507
	v_rcp_f32_e32 v4, v4                                       // 00000000AED0: 7E084504
	v_rcp_f32_e32 v5, v5                                       // 00000000AED4: 7E0A4505
	v_rcp_f32_e32 v6, v6                                       // 00000000AED8: 7E0C4506
	v_rcp_f32_e32 v7, v7                                       // 00000000AEDC: 7E0E4507
	v_mul_f32_e32 v104, v104, v4                               // 00000000AEE0: 0AD00968
	v_mul_f32_e32 v105, v105, v5                               // 00000000AEE4: 0AD20B69
	v_mul_f32_e32 v106, v106, v6                               // 00000000AEE8: 0AD40D6A
	v_mul_f32_e32 v107, v107, v7                               // 00000000AEEC: 0AD60F6B
	v_mul_f32_e32 v104, v104, v160                             // 00000000AEF0: 0AD14168
	v_mul_f32_e32 v105, v105, v161                             // 00000000AEF4: 0AD34369
	v_mul_f32_e32 v106, v106, v162                             // 00000000AEF8: 0AD5456A
	v_mul_f32_e32 v107, v107, v163                             // 00000000AEFC: 0AD7476B
	v_mul_f32_e64 v4, -v108, s6                                // 00000000AF00: D1050004 20000D6C
	v_mul_f32_e64 v5, -v109, s6                                // 00000000AF08: D1050005 20000D6D
	v_mul_f32_e64 v6, -v110, s6                                // 00000000AF10: D1050006 20000D6E
	v_mul_f32_e64 v7, -v111, s6                                // 00000000AF18: D1050007 20000D6F
	v_exp_f32_e32 v4, v4                                       // 00000000AF20: 7E084104
	v_exp_f32_e32 v5, v5                                       // 00000000AF24: 7E0A4105
	v_exp_f32_e32 v6, v6                                       // 00000000AF28: 7E0C4106
	v_exp_f32_e32 v7, v7                                       // 00000000AF2C: 7E0E4107
	v_add_f32_e64 v4, v4, 1.0                                  // 00000000AF30: D1010004 0001E504
	v_add_f32_e64 v5, v5, 1.0                                  // 00000000AF38: D1010005 0001E505
	v_add_f32_e64 v6, v6, 1.0                                  // 00000000AF40: D1010006 0001E506
	v_add_f32_e64 v7, v7, 1.0                                  // 00000000AF48: D1010007 0001E507
	v_rcp_f32_e32 v4, v4                                       // 00000000AF50: 7E084504
	v_rcp_f32_e32 v5, v5                                       // 00000000AF54: 7E0A4505
	v_rcp_f32_e32 v6, v6                                       // 00000000AF58: 7E0C4506
	v_rcp_f32_e32 v7, v7                                       // 00000000AF5C: 7E0E4507
	v_mul_f32_e32 v108, v108, v4                               // 00000000AF60: 0AD8096C
	v_mul_f32_e32 v109, v109, v5                               // 00000000AF64: 0ADA0B6D
	v_mul_f32_e32 v110, v110, v6                               // 00000000AF68: 0ADC0D6E
	v_mul_f32_e32 v111, v111, v7                               // 00000000AF6C: 0ADE0F6F
	v_mul_f32_e32 v108, v108, v164                             // 00000000AF70: 0AD9496C
	v_mul_f32_e32 v109, v109, v165                             // 00000000AF74: 0ADB4B6D
	v_mul_f32_e32 v110, v110, v166                             // 00000000AF78: 0ADD4D6E
	v_mul_f32_e32 v111, v111, v167                             // 00000000AF7C: 0ADF4F6F
	v_mul_f32_e64 v4, -v112, s6                                // 00000000AF80: D1050004 20000D70
	v_mul_f32_e64 v5, -v113, s6                                // 00000000AF88: D1050005 20000D71
	v_mul_f32_e64 v6, -v114, s6                                // 00000000AF90: D1050006 20000D72
	v_mul_f32_e64 v7, -v115, s6                                // 00000000AF98: D1050007 20000D73
	v_exp_f32_e32 v4, v4                                       // 00000000AFA0: 7E084104
	v_exp_f32_e32 v5, v5                                       // 00000000AFA4: 7E0A4105
	v_exp_f32_e32 v6, v6                                       // 00000000AFA8: 7E0C4106
	v_exp_f32_e32 v7, v7                                       // 00000000AFAC: 7E0E4107
	v_add_f32_e64 v4, v4, 1.0                                  // 00000000AFB0: D1010004 0001E504
	v_add_f32_e64 v5, v5, 1.0                                  // 00000000AFB8: D1010005 0001E505
	v_add_f32_e64 v6, v6, 1.0                                  // 00000000AFC0: D1010006 0001E506
	v_add_f32_e64 v7, v7, 1.0                                  // 00000000AFC8: D1010007 0001E507
	v_rcp_f32_e32 v4, v4                                       // 00000000AFD0: 7E084504
	v_rcp_f32_e32 v5, v5                                       // 00000000AFD4: 7E0A4505
	v_rcp_f32_e32 v6, v6                                       // 00000000AFD8: 7E0C4506
	v_rcp_f32_e32 v7, v7                                       // 00000000AFDC: 7E0E4507
	v_mul_f32_e32 v112, v112, v4                               // 00000000AFE0: 0AE00970
	v_mul_f32_e32 v113, v113, v5                               // 00000000AFE4: 0AE20B71
	v_mul_f32_e32 v114, v114, v6                               // 00000000AFE8: 0AE40D72
	v_mul_f32_e32 v115, v115, v7                               // 00000000AFEC: 0AE60F73
	v_mul_f32_e32 v112, v112, v168                             // 00000000AFF0: 0AE15170
	v_mul_f32_e32 v113, v113, v169                             // 00000000AFF4: 0AE35371
	v_mul_f32_e32 v114, v114, v170                             // 00000000AFF8: 0AE55572
	v_mul_f32_e32 v115, v115, v171                             // 00000000AFFC: 0AE75773
	v_mul_f32_e64 v4, -v116, s6                                // 00000000B000: D1050004 20000D74
	v_mul_f32_e64 v5, -v117, s6                                // 00000000B008: D1050005 20000D75
	v_mul_f32_e64 v6, -v118, s6                                // 00000000B010: D1050006 20000D76
	v_mul_f32_e64 v7, -v119, s6                                // 00000000B018: D1050007 20000D77
	v_exp_f32_e32 v4, v4                                       // 00000000B020: 7E084104
	v_exp_f32_e32 v5, v5                                       // 00000000B024: 7E0A4105
	v_exp_f32_e32 v6, v6                                       // 00000000B028: 7E0C4106
	v_exp_f32_e32 v7, v7                                       // 00000000B02C: 7E0E4107
	v_add_f32_e64 v4, v4, 1.0                                  // 00000000B030: D1010004 0001E504
	v_add_f32_e64 v5, v5, 1.0                                  // 00000000B038: D1010005 0001E505
	v_add_f32_e64 v6, v6, 1.0                                  // 00000000B040: D1010006 0001E506
	v_add_f32_e64 v7, v7, 1.0                                  // 00000000B048: D1010007 0001E507
	v_rcp_f32_e32 v4, v4                                       // 00000000B050: 7E084504
	v_rcp_f32_e32 v5, v5                                       // 00000000B054: 7E0A4505
	v_rcp_f32_e32 v6, v6                                       // 00000000B058: 7E0C4506
	v_rcp_f32_e32 v7, v7                                       // 00000000B05C: 7E0E4507
	v_mul_f32_e32 v116, v116, v4                               // 00000000B060: 0AE80974
	v_mul_f32_e32 v117, v117, v5                               // 00000000B064: 0AEA0B75
	v_mul_f32_e32 v118, v118, v6                               // 00000000B068: 0AEC0D76
	v_mul_f32_e32 v119, v119, v7                               // 00000000B06C: 0AEE0F77
	v_mul_f32_e32 v116, v116, v172                             // 00000000B070: 0AE95974
	v_mul_f32_e32 v117, v117, v173                             // 00000000B074: 0AEB5B75
	v_mul_f32_e32 v118, v118, v174                             // 00000000B078: 0AED5D76
	v_mul_f32_e32 v119, v119, v175                             // 00000000B07C: 0AEF5F77
	v_mul_f32_e64 v4, -v120, s6                                // 00000000B080: D1050004 20000D78
	v_mul_f32_e64 v5, -v121, s6                                // 00000000B088: D1050005 20000D79
	v_mul_f32_e64 v6, -v122, s6                                // 00000000B090: D1050006 20000D7A
	v_mul_f32_e64 v7, -v123, s6                                // 00000000B098: D1050007 20000D7B
	v_exp_f32_e32 v4, v4                                       // 00000000B0A0: 7E084104
	v_exp_f32_e32 v5, v5                                       // 00000000B0A4: 7E0A4105
	v_exp_f32_e32 v6, v6                                       // 00000000B0A8: 7E0C4106
	v_exp_f32_e32 v7, v7                                       // 00000000B0AC: 7E0E4107
	v_add_f32_e64 v4, v4, 1.0                                  // 00000000B0B0: D1010004 0001E504
	v_add_f32_e64 v5, v5, 1.0                                  // 00000000B0B8: D1010005 0001E505
	v_add_f32_e64 v6, v6, 1.0                                  // 00000000B0C0: D1010006 0001E506
	v_add_f32_e64 v7, v7, 1.0                                  // 00000000B0C8: D1010007 0001E507
	v_rcp_f32_e32 v4, v4                                       // 00000000B0D0: 7E084504
	v_rcp_f32_e32 v5, v5                                       // 00000000B0D4: 7E0A4505
	v_rcp_f32_e32 v6, v6                                       // 00000000B0D8: 7E0C4506
	v_rcp_f32_e32 v7, v7                                       // 00000000B0DC: 7E0E4507
	v_mul_f32_e32 v120, v120, v4                               // 00000000B0E0: 0AF00978
	v_mul_f32_e32 v121, v121, v5                               // 00000000B0E4: 0AF20B79
	v_mul_f32_e32 v122, v122, v6                               // 00000000B0E8: 0AF40D7A
	v_mul_f32_e32 v123, v123, v7                               // 00000000B0EC: 0AF60F7B
	v_mul_f32_e32 v120, v120, v176                             // 00000000B0F0: 0AF16178
	v_mul_f32_e32 v121, v121, v177                             // 00000000B0F4: 0AF36379
	v_mul_f32_e32 v122, v122, v178                             // 00000000B0F8: 0AF5657A
	v_mul_f32_e32 v123, v123, v179                             // 00000000B0FC: 0AF7677B
	v_mul_f32_e64 v4, -v124, s6                                // 00000000B100: D1050004 20000D7C
	v_mul_f32_e64 v5, -v125, s6                                // 00000000B108: D1050005 20000D7D
	v_mul_f32_e64 v6, -v126, s6                                // 00000000B110: D1050006 20000D7E
	v_mul_f32_e64 v7, -v127, s6                                // 00000000B118: D1050007 20000D7F
	v_exp_f32_e32 v4, v4                                       // 00000000B120: 7E084104
	v_exp_f32_e32 v5, v5                                       // 00000000B124: 7E0A4105
	v_exp_f32_e32 v6, v6                                       // 00000000B128: 7E0C4106
	v_exp_f32_e32 v7, v7                                       // 00000000B12C: 7E0E4107
	v_add_f32_e64 v4, v4, 1.0                                  // 00000000B130: D1010004 0001E504
	v_add_f32_e64 v5, v5, 1.0                                  // 00000000B138: D1010005 0001E505
	v_add_f32_e64 v6, v6, 1.0                                  // 00000000B140: D1010006 0001E506
	v_add_f32_e64 v7, v7, 1.0                                  // 00000000B148: D1010007 0001E507
	v_rcp_f32_e32 v4, v4                                       // 00000000B150: 7E084504
	v_rcp_f32_e32 v5, v5                                       // 00000000B154: 7E0A4505
	v_rcp_f32_e32 v6, v6                                       // 00000000B158: 7E0C4506
	v_rcp_f32_e32 v7, v7                                       // 00000000B15C: 7E0E4507
	v_mul_f32_e32 v124, v124, v4                               // 00000000B160: 0AF8097C
	v_mul_f32_e32 v125, v125, v5                               // 00000000B164: 0AFA0B7D
	v_mul_f32_e32 v126, v126, v6                               // 00000000B168: 0AFC0D7E
	v_mul_f32_e32 v127, v127, v7                               // 00000000B16C: 0AFE0F7F
	v_mul_f32_e32 v124, v124, v180                             // 00000000B170: 0AF9697C
	v_mul_f32_e32 v125, v125, v181                             // 00000000B174: 0AFB6B7D
	v_mul_f32_e32 v126, v126, v182                             // 00000000B178: 0AFD6D7E
	v_mul_f32_e32 v127, v127, v183                             // 00000000B17C: 0AFF6F7F

000000000000b180 <label_21E3>:
	s_cmp_eq_u32 s7, 0                                         // 00000000B180: BF068007
	s_cbranch_scc0 label_21FC                                  // 00000000B184: BF840017
	v_and_b32_e32 v4, 15, v0                                   // 00000000B188: 2608008F
	v_lshlrev_b32_e32 v4, 2, v4                                // 00000000B18C: 24080882
	buffer_load_dword v28, v4, s[12:15], 0 offen               // 00000000B190: E0501000 80031C04
	v_add_u32_e32 v4, 64, v4                                   // 00000000B198: 680808C0
	buffer_load_dword v29, v4, s[12:15], 0 offen               // 00000000B19C: E0501000 80031D04
	v_add_u32_e32 v4, 64, v4                                   // 00000000B1A4: 680808C0
	buffer_load_dword v30, v4, s[12:15], 0 offen               // 00000000B1A8: E0501000 80031E04
	v_add_u32_e32 v4, 64, v4                                   // 00000000B1B0: 680808C0
	buffer_load_dword v31, v4, s[12:15], 0 offen               // 00000000B1B4: E0501000 80031F04
	v_add_u32_e32 v4, 64, v4                                   // 00000000B1BC: 680808C0
	buffer_load_dword v32, v4, s[12:15], 0 offen               // 00000000B1C0: E0501000 80032004
	v_add_u32_e32 v4, 64, v4                                   // 00000000B1C8: 680808C0
	buffer_load_dword v33, v4, s[12:15], 0 offen               // 00000000B1CC: E0501000 80032104
	v_add_u32_e32 v4, 64, v4                                   // 00000000B1D4: 680808C0
	buffer_load_dword v34, v4, s[12:15], 0 offen               // 00000000B1D8: E0501000 80032204
	v_add_u32_e32 v4, 64, v4                                   // 00000000B1E0: 680808C0

000000000000b1e4 <label_21FC>:
	v_lshlrev_b32_e32 v4, 2, v0                                // 00000000B1E4: 24080082
	s_mul_i32 s60, 0x100, s7                                   // 00000000B1E8: 923C07FF 00000100
	v_add_u32_e32 v135, s60, v4                                // 00000000B1F0: 690E083C
	v_and_b32_e32 v4, 15, v0                                   // 00000000B1F4: 2608008F
	v_lshlrev_b32_e32 v136, 2, v4                              // 00000000B1F8: 25100882
	s_waitcnt lgkmcnt(0)                                       // 00000000B1FC: BF8CC07F
	s_barrier                                                  // 00000000B200: BF8A0000
	v_mov_b32_e32 v128, 0x358637bd                             // 00000000B204: 7F0002FF 358637BD
	v_max3_f32 v128, |v72|, |v73|, v128                        // 00000000B20C: D1D30380 06029348
	v_max3_f32 v128, |v74|, |v75|, v128                        // 00000000B214: D1D30380 0602974A
	v_max3_f32 v128, |v100|, |v101|, v128                      // 00000000B21C: D1D30380 0602CB64
	v_max3_f32 v128, |v102|, |v103|, v128                      // 00000000B224: D1D30380 0602CF66
	ds_write_b32 v135, v128                                    // 00000000B22C: D81A0000 00008087
	s_waitcnt lgkmcnt(0)                                       // 00000000B234: BF8CC07F
	s_barrier                                                  // 00000000B238: BF8A0000
	ds_read_b32 v4, v136                                       // 00000000B23C: D86C0000 04000088
	ds_read_b32 v5, v136 offset:64                             // 00000000B244: D86C0040 05000088
	ds_read_b32 v6, v136 offset:128                            // 00000000B24C: D86C0080 06000088
	ds_read_b32 v7, v136 offset:192                            // 00000000B254: D86C00C0 07000088
	ds_read_b32 v8, v136 offset:256                            // 00000000B25C: D86C0100 08000088
	ds_read_b32 v9, v136 offset:320                            // 00000000B264: D86C0140 09000088
	ds_read_b32 v10, v136 offset:384                           // 00000000B26C: D86C0180 0A000088
	ds_read_b32 v11, v136 offset:448                           // 00000000B274: D86C01C0 0B000088
	ds_read_b32 v12, v136 offset:512                           // 00000000B27C: D86C0200 0C000088
	ds_read_b32 v13, v136 offset:576                           // 00000000B284: D86C0240 0D000088
	ds_read_b32 v14, v136 offset:640                           // 00000000B28C: D86C0280 0E000088
	ds_read_b32 v15, v136 offset:704                           // 00000000B294: D86C02C0 0F000088
	ds_read_b32 v16, v136 offset:768                           // 00000000B29C: D86C0300 10000088
	ds_read_b32 v17, v136 offset:832                           // 00000000B2A4: D86C0340 11000088
	ds_read_b32 v18, v136 offset:896                           // 00000000B2AC: D86C0380 12000088
	ds_read_b32 v19, v136 offset:960                           // 00000000B2B4: D86C03C0 13000088
	s_waitcnt lgkmcnt(0)                                       // 00000000B2BC: BF8CC07F
	s_barrier                                                  // 00000000B2C0: BF8A0000
	v_max3_f32 v128, |v4|, |v5|, v128                          // 00000000B2C4: D1D30380 06020B04
	v_max3_f32 v128, |v6|, |v7|, v128                          // 00000000B2CC: D1D30380 06020F06
	v_max3_f32 v128, |v8|, |v9|, v128                          // 00000000B2D4: D1D30380 06021308
	v_max3_f32 v128, |v10|, |v11|, v128                        // 00000000B2DC: D1D30380 0602170A
	v_max3_f32 v128, |v12|, |v13|, v128                        // 00000000B2E4: D1D30380 06021B0C
	v_max3_f32 v128, |v14|, |v15|, v128                        // 00000000B2EC: D1D30380 06021F0E
	v_max3_f32 v128, |v16|, |v17|, v128                        // 00000000B2F4: D1D30380 06022310
	v_max3_f32 v128, |v18|, |v19|, v128                        // 00000000B2FC: D1D30380 06022712
	v_rcp_f32_e32 v128, v128                                   // 00000000B304: 7F004580
	v_mov_b32_e32 v4, 0x43700000                               // 00000000B308: 7E0802FF 43700000
	v_mul_f32_e32 v128, v4, v128                               // 00000000B310: 0B010104
	v_mov_b32_e32 v4, v128                                     // 00000000B314: 7E080380
	v_mov_b32_e32 v5, v4                                       // 00000000B318: 7E0A0304
	v_pk_mul_f32 v[72:73], v[4:5], v[72:73]                    // 00000000B31C: D3B14048 18029104
	v_pk_mul_f32 v[74:75], v[4:5], v[74:75]                    // 00000000B324: D3B1404A 18029504
	v_cvt_pk_fp8_f32 v72, v72, v73                             // 00000000B32C: D2A20048 00029348
	v_cvt_pk_fp8_f32 v72, v74, v75 op_sel:[0,0,1]              // 00000000B334: D2A24048 0002974A
	v_pk_mul_f32 v[100:101], v[4:5], v[100:101]                // 00000000B33C: D3B14064 1802C904
	v_pk_mul_f32 v[102:103], v[4:5], v[102:103]                // 00000000B344: D3B14066 1802CD04
	v_cvt_pk_fp8_f32 v100, v100, v101                          // 00000000B34C: D2A20064 0002CB64
	v_cvt_pk_fp8_f32 v100, v102, v103 op_sel:[0,0,1]           // 00000000B354: D2A24064 0002CF66
	v_rcp_f32_e32 v128, v128                                   // 00000000B35C: 7F004580
	v_mov_b32_e32 v129, 0x358637bd                             // 00000000B360: 7F0202FF 358637BD
	v_max3_f32 v129, |v76|, |v77|, v129                        // 00000000B368: D1D30381 06069B4C
	v_max3_f32 v129, |v78|, |v79|, v129                        // 00000000B370: D1D30381 06069F4E
	v_max3_f32 v129, |v104|, |v105|, v129                      // 00000000B378: D1D30381 0606D368
	v_max3_f32 v129, |v106|, |v107|, v129                      // 00000000B380: D1D30381 0606D76A
	ds_write_b32 v135, v129                                    // 00000000B388: D81A0000 00008187
	s_waitcnt lgkmcnt(0)                                       // 00000000B390: BF8CC07F
	s_barrier                                                  // 00000000B394: BF8A0000
	ds_read_b32 v4, v136                                       // 00000000B398: D86C0000 04000088
	ds_read_b32 v5, v136 offset:64                             // 00000000B3A0: D86C0040 05000088
	ds_read_b32 v6, v136 offset:128                            // 00000000B3A8: D86C0080 06000088
	ds_read_b32 v7, v136 offset:192                            // 00000000B3B0: D86C00C0 07000088
	ds_read_b32 v8, v136 offset:256                            // 00000000B3B8: D86C0100 08000088
	ds_read_b32 v9, v136 offset:320                            // 00000000B3C0: D86C0140 09000088
	ds_read_b32 v10, v136 offset:384                           // 00000000B3C8: D86C0180 0A000088
	ds_read_b32 v11, v136 offset:448                           // 00000000B3D0: D86C01C0 0B000088
	ds_read_b32 v12, v136 offset:512                           // 00000000B3D8: D86C0200 0C000088
	ds_read_b32 v13, v136 offset:576                           // 00000000B3E0: D86C0240 0D000088
	ds_read_b32 v14, v136 offset:640                           // 00000000B3E8: D86C0280 0E000088
	ds_read_b32 v15, v136 offset:704                           // 00000000B3F0: D86C02C0 0F000088
	ds_read_b32 v16, v136 offset:768                           // 00000000B3F8: D86C0300 10000088
	ds_read_b32 v17, v136 offset:832                           // 00000000B400: D86C0340 11000088
	ds_read_b32 v18, v136 offset:896                           // 00000000B408: D86C0380 12000088
	ds_read_b32 v19, v136 offset:960                           // 00000000B410: D86C03C0 13000088
	s_waitcnt lgkmcnt(0)                                       // 00000000B418: BF8CC07F
	s_barrier                                                  // 00000000B41C: BF8A0000
	v_max3_f32 v129, |v4|, |v5|, v129                          // 00000000B420: D1D30381 06060B04
	v_max3_f32 v129, |v6|, |v7|, v129                          // 00000000B428: D1D30381 06060F06
	v_max3_f32 v129, |v8|, |v9|, v129                          // 00000000B430: D1D30381 06061308
	v_max3_f32 v129, |v10|, |v11|, v129                        // 00000000B438: D1D30381 0606170A
	v_max3_f32 v129, |v12|, |v13|, v129                        // 00000000B440: D1D30381 06061B0C
	v_max3_f32 v129, |v14|, |v15|, v129                        // 00000000B448: D1D30381 06061F0E
	v_max3_f32 v129, |v16|, |v17|, v129                        // 00000000B450: D1D30381 06062310
	v_max3_f32 v129, |v18|, |v19|, v129                        // 00000000B458: D1D30381 06062712
	v_rcp_f32_e32 v129, v129                                   // 00000000B460: 7F024581
	v_mov_b32_e32 v4, 0x43700000                               // 00000000B464: 7E0802FF 43700000
	v_mul_f32_e32 v129, v4, v129                               // 00000000B46C: 0B030304
	v_mov_b32_e32 v4, v129                                     // 00000000B470: 7E080381
	v_mov_b32_e32 v5, v4                                       // 00000000B474: 7E0A0304
	v_pk_mul_f32 v[76:77], v[4:5], v[76:77]                    // 00000000B478: D3B1404C 18029904
	v_pk_mul_f32 v[78:79], v[4:5], v[78:79]                    // 00000000B480: D3B1404E 18029D04
	v_cvt_pk_fp8_f32 v76, v76, v77                             // 00000000B488: D2A2004C 00029B4C
	v_cvt_pk_fp8_f32 v76, v78, v79 op_sel:[0,0,1]              // 00000000B490: D2A2404C 00029F4E
	v_pk_mul_f32 v[104:105], v[4:5], v[104:105]                // 00000000B498: D3B14068 1802D104
	v_pk_mul_f32 v[106:107], v[4:5], v[106:107]                // 00000000B4A0: D3B1406A 1802D504
	v_cvt_pk_fp8_f32 v104, v104, v105                          // 00000000B4A8: D2A20068 0002D368
	v_cvt_pk_fp8_f32 v104, v106, v107 op_sel:[0,0,1]           // 00000000B4B0: D2A24068 0002D76A
	v_rcp_f32_e32 v129, v129                                   // 00000000B4B8: 7F024581
	v_mov_b32_e32 v130, 0x358637bd                             // 00000000B4BC: 7F0402FF 358637BD
	v_max3_f32 v130, |v80|, |v81|, v130                        // 00000000B4C4: D1D30382 060AA350
	v_max3_f32 v130, |v82|, |v83|, v130                        // 00000000B4CC: D1D30382 060AA752
	v_max3_f32 v130, |v108|, |v109|, v130                      // 00000000B4D4: D1D30382 060ADB6C
	v_max3_f32 v130, |v110|, |v111|, v130                      // 00000000B4DC: D1D30382 060ADF6E
	ds_write_b32 v135, v130                                    // 00000000B4E4: D81A0000 00008287
	s_waitcnt lgkmcnt(0)                                       // 00000000B4EC: BF8CC07F
	s_barrier                                                  // 00000000B4F0: BF8A0000
	ds_read_b32 v4, v136                                       // 00000000B4F4: D86C0000 04000088
	ds_read_b32 v5, v136 offset:64                             // 00000000B4FC: D86C0040 05000088
	ds_read_b32 v6, v136 offset:128                            // 00000000B504: D86C0080 06000088
	ds_read_b32 v7, v136 offset:192                            // 00000000B50C: D86C00C0 07000088
	ds_read_b32 v8, v136 offset:256                            // 00000000B514: D86C0100 08000088
	ds_read_b32 v9, v136 offset:320                            // 00000000B51C: D86C0140 09000088
	ds_read_b32 v10, v136 offset:384                           // 00000000B524: D86C0180 0A000088
	ds_read_b32 v11, v136 offset:448                           // 00000000B52C: D86C01C0 0B000088
	ds_read_b32 v12, v136 offset:512                           // 00000000B534: D86C0200 0C000088
	ds_read_b32 v13, v136 offset:576                           // 00000000B53C: D86C0240 0D000088
	ds_read_b32 v14, v136 offset:640                           // 00000000B544: D86C0280 0E000088
	ds_read_b32 v15, v136 offset:704                           // 00000000B54C: D86C02C0 0F000088
	ds_read_b32 v16, v136 offset:768                           // 00000000B554: D86C0300 10000088
	ds_read_b32 v17, v136 offset:832                           // 00000000B55C: D86C0340 11000088
	ds_read_b32 v18, v136 offset:896                           // 00000000B564: D86C0380 12000088
	ds_read_b32 v19, v136 offset:960                           // 00000000B56C: D86C03C0 13000088
	s_waitcnt lgkmcnt(0)                                       // 00000000B574: BF8CC07F
	s_barrier                                                  // 00000000B578: BF8A0000
	v_max3_f32 v130, |v4|, |v5|, v130                          // 00000000B57C: D1D30382 060A0B04
	v_max3_f32 v130, |v6|, |v7|, v130                          // 00000000B584: D1D30382 060A0F06
	v_max3_f32 v130, |v8|, |v9|, v130                          // 00000000B58C: D1D30382 060A1308
	v_max3_f32 v130, |v10|, |v11|, v130                        // 00000000B594: D1D30382 060A170A
	v_max3_f32 v130, |v12|, |v13|, v130                        // 00000000B59C: D1D30382 060A1B0C
	v_max3_f32 v130, |v14|, |v15|, v130                        // 00000000B5A4: D1D30382 060A1F0E
	v_max3_f32 v130, |v16|, |v17|, v130                        // 00000000B5AC: D1D30382 060A2310
	v_max3_f32 v130, |v18|, |v19|, v130                        // 00000000B5B4: D1D30382 060A2712
	v_rcp_f32_e32 v130, v130                                   // 00000000B5BC: 7F044582
	v_mov_b32_e32 v4, 0x43700000                               // 00000000B5C0: 7E0802FF 43700000
	v_mul_f32_e32 v130, v4, v130                               // 00000000B5C8: 0B050504
	v_mov_b32_e32 v4, v130                                     // 00000000B5CC: 7E080382
	v_mov_b32_e32 v5, v4                                       // 00000000B5D0: 7E0A0304
	v_pk_mul_f32 v[80:81], v[4:5], v[80:81]                    // 00000000B5D4: D3B14050 1802A104
	v_pk_mul_f32 v[82:83], v[4:5], v[82:83]                    // 00000000B5DC: D3B14052 1802A504
	v_cvt_pk_fp8_f32 v80, v80, v81                             // 00000000B5E4: D2A20050 0002A350
	v_cvt_pk_fp8_f32 v80, v82, v83 op_sel:[0,0,1]              // 00000000B5EC: D2A24050 0002A752
	v_pk_mul_f32 v[108:109], v[4:5], v[108:109]                // 00000000B5F4: D3B1406C 1802D904
	v_pk_mul_f32 v[110:111], v[4:5], v[110:111]                // 00000000B5FC: D3B1406E 1802DD04
	v_cvt_pk_fp8_f32 v108, v108, v109                          // 00000000B604: D2A2006C 0002DB6C
	v_cvt_pk_fp8_f32 v108, v110, v111 op_sel:[0,0,1]           // 00000000B60C: D2A2406C 0002DF6E
	v_rcp_f32_e32 v130, v130                                   // 00000000B614: 7F044582
	v_mov_b32_e32 v131, 0x358637bd                             // 00000000B618: 7F0602FF 358637BD
	v_max3_f32 v131, |v84|, |v85|, v131                        // 00000000B620: D1D30383 060EAB54
	v_max3_f32 v131, |v86|, |v87|, v131                        // 00000000B628: D1D30383 060EAF56
	v_max3_f32 v131, |v112|, |v113|, v131                      // 00000000B630: D1D30383 060EE370
	v_max3_f32 v131, |v114|, |v115|, v131                      // 00000000B638: D1D30383 060EE772
	ds_write_b32 v135, v131                                    // 00000000B640: D81A0000 00008387
	s_waitcnt lgkmcnt(0)                                       // 00000000B648: BF8CC07F
	s_barrier                                                  // 00000000B64C: BF8A0000
	ds_read_b32 v4, v136                                       // 00000000B650: D86C0000 04000088
	ds_read_b32 v5, v136 offset:64                             // 00000000B658: D86C0040 05000088
	ds_read_b32 v6, v136 offset:128                            // 00000000B660: D86C0080 06000088
	ds_read_b32 v7, v136 offset:192                            // 00000000B668: D86C00C0 07000088
	ds_read_b32 v8, v136 offset:256                            // 00000000B670: D86C0100 08000088
	ds_read_b32 v9, v136 offset:320                            // 00000000B678: D86C0140 09000088
	ds_read_b32 v10, v136 offset:384                           // 00000000B680: D86C0180 0A000088
	ds_read_b32 v11, v136 offset:448                           // 00000000B688: D86C01C0 0B000088
	ds_read_b32 v12, v136 offset:512                           // 00000000B690: D86C0200 0C000088
	ds_read_b32 v13, v136 offset:576                           // 00000000B698: D86C0240 0D000088
	ds_read_b32 v14, v136 offset:640                           // 00000000B6A0: D86C0280 0E000088
	ds_read_b32 v15, v136 offset:704                           // 00000000B6A8: D86C02C0 0F000088
	ds_read_b32 v16, v136 offset:768                           // 00000000B6B0: D86C0300 10000088
	ds_read_b32 v17, v136 offset:832                           // 00000000B6B8: D86C0340 11000088
	ds_read_b32 v18, v136 offset:896                           // 00000000B6C0: D86C0380 12000088
	ds_read_b32 v19, v136 offset:960                           // 00000000B6C8: D86C03C0 13000088
	s_waitcnt lgkmcnt(0)                                       // 00000000B6D0: BF8CC07F
	s_barrier                                                  // 00000000B6D4: BF8A0000
	v_max3_f32 v131, |v4|, |v5|, v131                          // 00000000B6D8: D1D30383 060E0B04
	v_max3_f32 v131, |v6|, |v7|, v131                          // 00000000B6E0: D1D30383 060E0F06
	v_max3_f32 v131, |v8|, |v9|, v131                          // 00000000B6E8: D1D30383 060E1308
	v_max3_f32 v131, |v10|, |v11|, v131                        // 00000000B6F0: D1D30383 060E170A
	v_max3_f32 v131, |v12|, |v13|, v131                        // 00000000B6F8: D1D30383 060E1B0C
	v_max3_f32 v131, |v14|, |v15|, v131                        // 00000000B700: D1D30383 060E1F0E
	v_max3_f32 v131, |v16|, |v17|, v131                        // 00000000B708: D1D30383 060E2310
	v_max3_f32 v131, |v18|, |v19|, v131                        // 00000000B710: D1D30383 060E2712
	v_rcp_f32_e32 v131, v131                                   // 00000000B718: 7F064583
	v_mov_b32_e32 v4, 0x43700000                               // 00000000B71C: 7E0802FF 43700000
	v_mul_f32_e32 v131, v4, v131                               // 00000000B724: 0B070704
	v_mov_b32_e32 v4, v131                                     // 00000000B728: 7E080383
	v_mov_b32_e32 v5, v4                                       // 00000000B72C: 7E0A0304
	v_pk_mul_f32 v[84:85], v[4:5], v[84:85]                    // 00000000B730: D3B14054 1802A904
	v_pk_mul_f32 v[86:87], v[4:5], v[86:87]                    // 00000000B738: D3B14056 1802AD04
	v_cvt_pk_fp8_f32 v84, v84, v85                             // 00000000B740: D2A20054 0002AB54
	v_cvt_pk_fp8_f32 v84, v86, v87 op_sel:[0,0,1]              // 00000000B748: D2A24054 0002AF56
	v_pk_mul_f32 v[112:113], v[4:5], v[112:113]                // 00000000B750: D3B14070 1802E104
	v_pk_mul_f32 v[114:115], v[4:5], v[114:115]                // 00000000B758: D3B14072 1802E504
	v_cvt_pk_fp8_f32 v112, v112, v113                          // 00000000B760: D2A20070 0002E370
	v_cvt_pk_fp8_f32 v112, v114, v115 op_sel:[0,0,1]           // 00000000B768: D2A24070 0002E772
	v_rcp_f32_e32 v131, v131                                   // 00000000B770: 7F064583
	v_mov_b32_e32 v132, 0x358637bd                             // 00000000B774: 7F0802FF 358637BD
	v_max3_f32 v132, |v88|, |v89|, v132                        // 00000000B77C: D1D30384 0612B358
	v_max3_f32 v132, |v90|, |v91|, v132                        // 00000000B784: D1D30384 0612B75A
	v_max3_f32 v132, |v116|, |v117|, v132                      // 00000000B78C: D1D30384 0612EB74
	v_max3_f32 v132, |v118|, |v119|, v132                      // 00000000B794: D1D30384 0612EF76
	ds_write_b32 v135, v132                                    // 00000000B79C: D81A0000 00008487
	s_waitcnt lgkmcnt(0)                                       // 00000000B7A4: BF8CC07F
	s_barrier                                                  // 00000000B7A8: BF8A0000
	ds_read_b32 v4, v136                                       // 00000000B7AC: D86C0000 04000088
	ds_read_b32 v5, v136 offset:64                             // 00000000B7B4: D86C0040 05000088
	ds_read_b32 v6, v136 offset:128                            // 00000000B7BC: D86C0080 06000088
	ds_read_b32 v7, v136 offset:192                            // 00000000B7C4: D86C00C0 07000088
	ds_read_b32 v8, v136 offset:256                            // 00000000B7CC: D86C0100 08000088
	ds_read_b32 v9, v136 offset:320                            // 00000000B7D4: D86C0140 09000088
	ds_read_b32 v10, v136 offset:384                           // 00000000B7DC: D86C0180 0A000088
	ds_read_b32 v11, v136 offset:448                           // 00000000B7E4: D86C01C0 0B000088
	ds_read_b32 v12, v136 offset:512                           // 00000000B7EC: D86C0200 0C000088
	ds_read_b32 v13, v136 offset:576                           // 00000000B7F4: D86C0240 0D000088
	ds_read_b32 v14, v136 offset:640                           // 00000000B7FC: D86C0280 0E000088
	ds_read_b32 v15, v136 offset:704                           // 00000000B804: D86C02C0 0F000088
	ds_read_b32 v16, v136 offset:768                           // 00000000B80C: D86C0300 10000088
	ds_read_b32 v17, v136 offset:832                           // 00000000B814: D86C0340 11000088
	ds_read_b32 v18, v136 offset:896                           // 00000000B81C: D86C0380 12000088
	ds_read_b32 v19, v136 offset:960                           // 00000000B824: D86C03C0 13000088
	s_waitcnt lgkmcnt(0)                                       // 00000000B82C: BF8CC07F
	s_barrier                                                  // 00000000B830: BF8A0000
	v_max3_f32 v132, |v4|, |v5|, v132                          // 00000000B834: D1D30384 06120B04
	v_max3_f32 v132, |v6|, |v7|, v132                          // 00000000B83C: D1D30384 06120F06
	v_max3_f32 v132, |v8|, |v9|, v132                          // 00000000B844: D1D30384 06121308
	v_max3_f32 v132, |v10|, |v11|, v132                        // 00000000B84C: D1D30384 0612170A
	v_max3_f32 v132, |v12|, |v13|, v132                        // 00000000B854: D1D30384 06121B0C
	v_max3_f32 v132, |v14|, |v15|, v132                        // 00000000B85C: D1D30384 06121F0E
	v_max3_f32 v132, |v16|, |v17|, v132                        // 00000000B864: D1D30384 06122310
	v_max3_f32 v132, |v18|, |v19|, v132                        // 00000000B86C: D1D30384 06122712
	v_rcp_f32_e32 v132, v132                                   // 00000000B874: 7F084584
	v_mov_b32_e32 v4, 0x43700000                               // 00000000B878: 7E0802FF 43700000
	v_mul_f32_e32 v132, v4, v132                               // 00000000B880: 0B090904
	v_mov_b32_e32 v4, v132                                     // 00000000B884: 7E080384
	v_mov_b32_e32 v5, v4                                       // 00000000B888: 7E0A0304
	v_pk_mul_f32 v[88:89], v[4:5], v[88:89]                    // 00000000B88C: D3B14058 1802B104
	v_pk_mul_f32 v[90:91], v[4:5], v[90:91]                    // 00000000B894: D3B1405A 1802B504
	v_cvt_pk_fp8_f32 v88, v88, v89                             // 00000000B89C: D2A20058 0002B358
	v_cvt_pk_fp8_f32 v88, v90, v91 op_sel:[0,0,1]              // 00000000B8A4: D2A24058 0002B75A
	v_pk_mul_f32 v[116:117], v[4:5], v[116:117]                // 00000000B8AC: D3B14074 1802E904
	v_pk_mul_f32 v[118:119], v[4:5], v[118:119]                // 00000000B8B4: D3B14076 1802ED04
	v_cvt_pk_fp8_f32 v116, v116, v117                          // 00000000B8BC: D2A20074 0002EB74
	v_cvt_pk_fp8_f32 v116, v118, v119 op_sel:[0,0,1]           // 00000000B8C4: D2A24074 0002EF76
	v_rcp_f32_e32 v132, v132                                   // 00000000B8CC: 7F084584
	v_mov_b32_e32 v133, 0x358637bd                             // 00000000B8D0: 7F0A02FF 358637BD
	v_max3_f32 v133, |v92|, |v93|, v133                        // 00000000B8D8: D1D30385 0616BB5C
	v_max3_f32 v133, |v94|, |v95|, v133                        // 00000000B8E0: D1D30385 0616BF5E
	v_max3_f32 v133, |v120|, |v121|, v133                      // 00000000B8E8: D1D30385 0616F378
	v_max3_f32 v133, |v122|, |v123|, v133                      // 00000000B8F0: D1D30385 0616F77A
	ds_write_b32 v135, v133                                    // 00000000B8F8: D81A0000 00008587
	s_waitcnt lgkmcnt(0)                                       // 00000000B900: BF8CC07F
	s_barrier                                                  // 00000000B904: BF8A0000
	ds_read_b32 v4, v136                                       // 00000000B908: D86C0000 04000088
	ds_read_b32 v5, v136 offset:64                             // 00000000B910: D86C0040 05000088
	ds_read_b32 v6, v136 offset:128                            // 00000000B918: D86C0080 06000088
	ds_read_b32 v7, v136 offset:192                            // 00000000B920: D86C00C0 07000088
	ds_read_b32 v8, v136 offset:256                            // 00000000B928: D86C0100 08000088
	ds_read_b32 v9, v136 offset:320                            // 00000000B930: D86C0140 09000088
	ds_read_b32 v10, v136 offset:384                           // 00000000B938: D86C0180 0A000088
	ds_read_b32 v11, v136 offset:448                           // 00000000B940: D86C01C0 0B000088
	ds_read_b32 v12, v136 offset:512                           // 00000000B948: D86C0200 0C000088
	ds_read_b32 v13, v136 offset:576                           // 00000000B950: D86C0240 0D000088
	ds_read_b32 v14, v136 offset:640                           // 00000000B958: D86C0280 0E000088
	ds_read_b32 v15, v136 offset:704                           // 00000000B960: D86C02C0 0F000088
	ds_read_b32 v16, v136 offset:768                           // 00000000B968: D86C0300 10000088
	ds_read_b32 v17, v136 offset:832                           // 00000000B970: D86C0340 11000088
	ds_read_b32 v18, v136 offset:896                           // 00000000B978: D86C0380 12000088
	ds_read_b32 v19, v136 offset:960                           // 00000000B980: D86C03C0 13000088
	s_waitcnt lgkmcnt(0)                                       // 00000000B988: BF8CC07F
	s_barrier                                                  // 00000000B98C: BF8A0000
	v_max3_f32 v133, |v4|, |v5|, v133                          // 00000000B990: D1D30385 06160B04
	v_max3_f32 v133, |v6|, |v7|, v133                          // 00000000B998: D1D30385 06160F06
	v_max3_f32 v133, |v8|, |v9|, v133                          // 00000000B9A0: D1D30385 06161308
	v_max3_f32 v133, |v10|, |v11|, v133                        // 00000000B9A8: D1D30385 0616170A
	v_max3_f32 v133, |v12|, |v13|, v133                        // 00000000B9B0: D1D30385 06161B0C
	v_max3_f32 v133, |v14|, |v15|, v133                        // 00000000B9B8: D1D30385 06161F0E
	v_max3_f32 v133, |v16|, |v17|, v133                        // 00000000B9C0: D1D30385 06162310
	v_max3_f32 v133, |v18|, |v19|, v133                        // 00000000B9C8: D1D30385 06162712
	v_rcp_f32_e32 v133, v133                                   // 00000000B9D0: 7F0A4585
	v_mov_b32_e32 v4, 0x43700000                               // 00000000B9D4: 7E0802FF 43700000
	v_mul_f32_e32 v133, v4, v133                               // 00000000B9DC: 0B0B0B04
	v_mov_b32_e32 v4, v133                                     // 00000000B9E0: 7E080385
	v_mov_b32_e32 v5, v4                                       // 00000000B9E4: 7E0A0304
	v_pk_mul_f32 v[92:93], v[4:5], v[92:93]                    // 00000000B9E8: D3B1405C 1802B904
	v_pk_mul_f32 v[94:95], v[4:5], v[94:95]                    // 00000000B9F0: D3B1405E 1802BD04
	v_cvt_pk_fp8_f32 v92, v92, v93                             // 00000000B9F8: D2A2005C 0002BB5C
	v_cvt_pk_fp8_f32 v92, v94, v95 op_sel:[0,0,1]              // 00000000BA00: D2A2405C 0002BF5E
	v_pk_mul_f32 v[120:121], v[4:5], v[120:121]                // 00000000BA08: D3B14078 1802F104
	v_pk_mul_f32 v[122:123], v[4:5], v[122:123]                // 00000000BA10: D3B1407A 1802F504
	v_cvt_pk_fp8_f32 v120, v120, v121                          // 00000000BA18: D2A20078 0002F378
	v_cvt_pk_fp8_f32 v120, v122, v123 op_sel:[0,0,1]           // 00000000BA20: D2A24078 0002F77A
	v_rcp_f32_e32 v133, v133                                   // 00000000BA28: 7F0A4585
	v_mov_b32_e32 v134, 0x358637bd                             // 00000000BA2C: 7F0C02FF 358637BD
	v_max3_f32 v134, |v96|, |v97|, v134                        // 00000000BA34: D1D30386 061AC360
	v_max3_f32 v134, |v98|, |v99|, v134                        // 00000000BA3C: D1D30386 061AC762
	v_max3_f32 v134, |v124|, |v125|, v134                      // 00000000BA44: D1D30386 061AFB7C
	v_max3_f32 v134, |v126|, |v127|, v134                      // 00000000BA4C: D1D30386 061AFF7E
	ds_write_b32 v135, v134                                    // 00000000BA54: D81A0000 00008687
	s_waitcnt lgkmcnt(0)                                       // 00000000BA5C: BF8CC07F
	s_barrier                                                  // 00000000BA60: BF8A0000
	ds_read_b32 v4, v136                                       // 00000000BA64: D86C0000 04000088
	ds_read_b32 v5, v136 offset:64                             // 00000000BA6C: D86C0040 05000088
	ds_read_b32 v6, v136 offset:128                            // 00000000BA74: D86C0080 06000088
	ds_read_b32 v7, v136 offset:192                            // 00000000BA7C: D86C00C0 07000088
	ds_read_b32 v8, v136 offset:256                            // 00000000BA84: D86C0100 08000088
	ds_read_b32 v9, v136 offset:320                            // 00000000BA8C: D86C0140 09000088
	ds_read_b32 v10, v136 offset:384                           // 00000000BA94: D86C0180 0A000088
	ds_read_b32 v11, v136 offset:448                           // 00000000BA9C: D86C01C0 0B000088
	ds_read_b32 v12, v136 offset:512                           // 00000000BAA4: D86C0200 0C000088
	ds_read_b32 v13, v136 offset:576                           // 00000000BAAC: D86C0240 0D000088
	ds_read_b32 v14, v136 offset:640                           // 00000000BAB4: D86C0280 0E000088
	ds_read_b32 v15, v136 offset:704                           // 00000000BABC: D86C02C0 0F000088
	ds_read_b32 v16, v136 offset:768                           // 00000000BAC4: D86C0300 10000088
	ds_read_b32 v17, v136 offset:832                           // 00000000BACC: D86C0340 11000088
	ds_read_b32 v18, v136 offset:896                           // 00000000BAD4: D86C0380 12000088
	ds_read_b32 v19, v136 offset:960                           // 00000000BADC: D86C03C0 13000088
	s_waitcnt lgkmcnt(0)                                       // 00000000BAE4: BF8CC07F
	s_barrier                                                  // 00000000BAE8: BF8A0000
	v_max3_f32 v134, |v4|, |v5|, v134                          // 00000000BAEC: D1D30386 061A0B04
	v_max3_f32 v134, |v6|, |v7|, v134                          // 00000000BAF4: D1D30386 061A0F06
	v_max3_f32 v134, |v8|, |v9|, v134                          // 00000000BAFC: D1D30386 061A1308
	v_max3_f32 v134, |v10|, |v11|, v134                        // 00000000BB04: D1D30386 061A170A
	v_max3_f32 v134, |v12|, |v13|, v134                        // 00000000BB0C: D1D30386 061A1B0C
	v_max3_f32 v134, |v14|, |v15|, v134                        // 00000000BB14: D1D30386 061A1F0E
	v_max3_f32 v134, |v16|, |v17|, v134                        // 00000000BB1C: D1D30386 061A2310
	v_max3_f32 v134, |v18|, |v19|, v134                        // 00000000BB24: D1D30386 061A2712
	v_rcp_f32_e32 v134, v134                                   // 00000000BB2C: 7F0C4586
	v_mov_b32_e32 v4, 0x43700000                               // 00000000BB30: 7E0802FF 43700000
	v_mul_f32_e32 v134, v4, v134                               // 00000000BB38: 0B0D0D04
	v_mov_b32_e32 v4, v134                                     // 00000000BB3C: 7E080386
	v_mov_b32_e32 v5, v4                                       // 00000000BB40: 7E0A0304
	v_pk_mul_f32 v[96:97], v[4:5], v[96:97]                    // 00000000BB44: D3B14060 1802C104
	v_pk_mul_f32 v[98:99], v[4:5], v[98:99]                    // 00000000BB4C: D3B14062 1802C504
	v_cvt_pk_fp8_f32 v96, v96, v97                             // 00000000BB54: D2A20060 0002C360
	v_cvt_pk_fp8_f32 v96, v98, v99 op_sel:[0,0,1]              // 00000000BB5C: D2A24060 0002C762
	v_pk_mul_f32 v[124:125], v[4:5], v[124:125]                // 00000000BB64: D3B1407C 1802F904
	v_pk_mul_f32 v[126:127], v[4:5], v[126:127]                // 00000000BB6C: D3B1407E 1802FD04
	v_cvt_pk_fp8_f32 v124, v124, v125                          // 00000000BB74: D2A2007C 0002FB7C
	v_cvt_pk_fp8_f32 v124, v126, v127 op_sel:[0,0,1]           // 00000000BB7C: D2A2407C 0002FF7E
	v_rcp_f32_e32 v134, v134                                   // 00000000BB84: 7F0C4586
	v_lshrrev_b32_e32 v4, 5, v0                                // 00000000BB88: 20080085
	v_mul_lo_u32 v20, 34, v4                                   // 00000000BB8C: D2850014 000208A2
	v_and_b32_e32 v4, 31, v0                                   // 00000000BB94: 2608009F
	v_lshrrev_b32_e32 v5, 4, v4                                // 00000000BB98: 200A0884
	v_add_u32_e32 v20, v5, v20                                 // 00000000BB9C: 68282905
	v_and_b32_e32 v4, 15, v0                                   // 00000000BBA0: 2608008F
	v_mul_lo_u32 v5, 2, v4                                     // 00000000BBA4: D2850005 00020882
	v_add_u32_e32 v20, v5, v20                                 // 00000000BBAC: 68282905
	s_mul_i32 s60, s7, 0x44                                    // 00000000BBB0: 923CFF07 00000044
	v_add_u32_e32 v20, s60, v20                                // 00000000BBB8: 6828283C
	v_lshlrev_b32_e32 v20, 2, v20                              // 00000000BBBC: 24282882
	ds_write_b32 v20, v72                                      // 00000000BBC0: D81A0000 00004814
	ds_write_b32 v20, v76 offset:2176                          // 00000000BBC8: D81A0880 00004C14
	ds_write_b32 v20, v80 offset:4352                          // 00000000BBD0: D81A1100 00005014
	ds_write_b32 v20, v84 offset:6528                          // 00000000BBD8: D81A1980 00005414
	ds_write_b32 v20, v88 offset:8704                          // 00000000BBE0: D81A2200 00005814
	ds_write_b32 v20, v92 offset:10880                         // 00000000BBE8: D81A2A80 00005C14
	ds_write_b32 v20, v96 offset:13056                         // 00000000BBF0: D81A3300 00006014
	ds_write_b32 v20, v100 offset:1088                         // 00000000BBF8: D81A0440 00006414
	ds_write_b32 v20, v104 offset:3264                         // 00000000BC00: D81A0CC0 00006814
	ds_write_b32 v20, v108 offset:5440                         // 00000000BC08: D81A1540 00006C14
	ds_write_b32 v20, v112 offset:7616                         // 00000000BC10: D81A1DC0 00007014
	ds_write_b32 v20, v116 offset:9792                         // 00000000BC18: D81A2640 00007414
	ds_write_b32 v20, v120 offset:11968                        // 00000000BC20: D81A2EC0 00007814
	ds_write_b32 v20, v124 offset:14144                        // 00000000BC28: D81A3740 00007C14
	v_lshrrev_b32_e32 v4, 5, v0                                // 00000000BC30: 20080085
	v_xor_b32_e32 v5, 1, v4                                    // 00000000BC34: 2A0A0881
	s_mul_i32 s60, s65, 1                                      // 00000000BC38: 923C8141
	s_cmp_eq_u32 s88, 0                                        // 00000000BC3C: BF068058
	s_cselect_b32 s61, 1, 8                                    // 00000000BC40: 853D8881
	s_mul_i32 s60, s61, s60                                    // 00000000BC44: 923C3C3D
	v_readlane_b32 s82, v3, 0                                  // 00000000BC48: D2890052 00010103
	s_lshr_b32 s61, s82, 24                                    // 00000000BC50: 8F3D9852
	s_and_b32 s82, s82, 0xffffff                               // 00000000BC54: 8652FF52 00FFFFFF
	s_mul_i32 s82, s82, s71                                    // 00000000BC5C: 92524752
	s_mul_i32 s61, s60, s61                                    // 00000000BC60: 923D3D3C
	s_add_u32 s82, s82, s61                                    // 00000000BC64: 80523D52
	v_mul_lo_u32 v6, v5, s82                                   // 00000000BC68: D2850006 0000A505
	v_readlane_b32 s82, v3, 1                                  // 00000000BC70: D2890052 00010303
	s_lshr_b32 s61, s82, 24                                    // 00000000BC78: 8F3D9852
	s_and_b32 s82, s82, 0xffffff                               // 00000000BC7C: 8652FF52 00FFFFFF
	s_mul_i32 s82, s82, s71                                    // 00000000BC84: 92524752
	s_mul_i32 s61, s60, s61                                    // 00000000BC88: 923D3D3C
	s_add_u32 s82, s82, s61                                    // 00000000BC8C: 80523D52
	v_mul_lo_u32 v7, v4, s82                                   // 00000000BC90: D2850007 0000A504
	v_add_u32_e32 v56, v6, v7                                  // 00000000BC98: 68700F06
	v_readlane_b32 s82, v3, 2                                  // 00000000BC9C: D2890052 00010503
	s_lshr_b32 s61, s82, 24                                    // 00000000BCA4: 8F3D9852
	s_and_b32 s82, s82, 0xffffff                               // 00000000BCA8: 8652FF52 00FFFFFF
	s_mul_i32 s82, s82, s71                                    // 00000000BCB0: 92524752
	s_mul_i32 s61, s60, s61                                    // 00000000BCB4: 923D3D3C
	s_add_u32 s82, s82, s61                                    // 00000000BCB8: 80523D52
	v_mul_lo_u32 v6, v5, s82                                   // 00000000BCBC: D2850006 0000A505
	v_readlane_b32 s82, v3, 3                                  // 00000000BCC4: D2890052 00010703
	s_lshr_b32 s61, s82, 24                                    // 00000000BCCC: 8F3D9852
	s_and_b32 s82, s82, 0xffffff                               // 00000000BCD0: 8652FF52 00FFFFFF
	s_mul_i32 s82, s82, s71                                    // 00000000BCD8: 92524752
	s_mul_i32 s61, s60, s61                                    // 00000000BCDC: 923D3D3C
	s_add_u32 s82, s82, s61                                    // 00000000BCE0: 80523D52
	v_mul_lo_u32 v7, v4, s82                                   // 00000000BCE4: D2850007 0000A504
	v_add_u32_e32 v57, v6, v7                                  // 00000000BCEC: 68720F06
	v_readlane_b32 s82, v3, 4                                  // 00000000BCF0: D2890052 00010903
	s_lshr_b32 s61, s82, 24                                    // 00000000BCF8: 8F3D9852
	s_and_b32 s82, s82, 0xffffff                               // 00000000BCFC: 8652FF52 00FFFFFF
	s_mul_i32 s82, s82, s71                                    // 00000000BD04: 92524752
	s_mul_i32 s61, s60, s61                                    // 00000000BD08: 923D3D3C
	s_add_u32 s82, s82, s61                                    // 00000000BD0C: 80523D52
	v_mul_lo_u32 v6, v5, s82                                   // 00000000BD10: D2850006 0000A505
	v_readlane_b32 s82, v3, 5                                  // 00000000BD18: D2890052 00010B03
	s_lshr_b32 s61, s82, 24                                    // 00000000BD20: 8F3D9852
	s_and_b32 s82, s82, 0xffffff                               // 00000000BD24: 8652FF52 00FFFFFF
	s_mul_i32 s82, s82, s71                                    // 00000000BD2C: 92524752
	s_mul_i32 s61, s60, s61                                    // 00000000BD30: 923D3D3C
	s_add_u32 s82, s82, s61                                    // 00000000BD34: 80523D52
	v_mul_lo_u32 v7, v4, s82                                   // 00000000BD38: D2850007 0000A504
	v_add_u32_e32 v58, v6, v7                                  // 00000000BD40: 68740F06
	v_readlane_b32 s82, v3, 6                                  // 00000000BD44: D2890052 00010D03
	s_lshr_b32 s61, s82, 24                                    // 00000000BD4C: 8F3D9852
	s_and_b32 s82, s82, 0xffffff                               // 00000000BD50: 8652FF52 00FFFFFF
	s_mul_i32 s82, s82, s71                                    // 00000000BD58: 92524752
	s_mul_i32 s61, s60, s61                                    // 00000000BD5C: 923D3D3C
	s_add_u32 s82, s82, s61                                    // 00000000BD60: 80523D52
	v_mul_lo_u32 v6, v5, s82                                   // 00000000BD64: D2850006 0000A505
	v_readlane_b32 s82, v3, 7                                  // 00000000BD6C: D2890052 00010F03
	s_lshr_b32 s61, s82, 24                                    // 00000000BD74: 8F3D9852
	s_and_b32 s82, s82, 0xffffff                               // 00000000BD78: 8652FF52 00FFFFFF
	s_mul_i32 s82, s82, s71                                    // 00000000BD80: 92524752
	s_mul_i32 s61, s60, s61                                    // 00000000BD84: 923D3D3C
	s_add_u32 s82, s82, s61                                    // 00000000BD88: 80523D52
	v_mul_lo_u32 v7, v4, s82                                   // 00000000BD8C: D2850007 0000A504
	v_add_u32_e32 v59, v6, v7                                  // 00000000BD94: 68760F06
	v_readlane_b32 s82, v3, 8                                  // 00000000BD98: D2890052 00011103
	s_lshr_b32 s61, s82, 24                                    // 00000000BDA0: 8F3D9852
	s_and_b32 s82, s82, 0xffffff                               // 00000000BDA4: 8652FF52 00FFFFFF
	s_mul_i32 s82, s82, s71                                    // 00000000BDAC: 92524752
	s_mul_i32 s61, s60, s61                                    // 00000000BDB0: 923D3D3C
	s_add_u32 s82, s82, s61                                    // 00000000BDB4: 80523D52
	v_mul_lo_u32 v6, v5, s82                                   // 00000000BDB8: D2850006 0000A505
	v_readlane_b32 s82, v3, 9                                  // 00000000BDC0: D2890052 00011303
	s_lshr_b32 s61, s82, 24                                    // 00000000BDC8: 8F3D9852
	s_and_b32 s82, s82, 0xffffff                               // 00000000BDCC: 8652FF52 00FFFFFF
	s_mul_i32 s82, s82, s71                                    // 00000000BDD4: 92524752
	s_mul_i32 s61, s60, s61                                    // 00000000BDD8: 923D3D3C
	s_add_u32 s82, s82, s61                                    // 00000000BDDC: 80523D52
	v_mul_lo_u32 v7, v4, s82                                   // 00000000BDE0: D2850007 0000A504
	v_add_u32_e32 v60, v6, v7                                  // 00000000BDE8: 68780F06
	v_readlane_b32 s82, v3, 10                                 // 00000000BDEC: D2890052 00011503
	s_lshr_b32 s61, s82, 24                                    // 00000000BDF4: 8F3D9852
	s_and_b32 s82, s82, 0xffffff                               // 00000000BDF8: 8652FF52 00FFFFFF
	s_mul_i32 s82, s82, s71                                    // 00000000BE00: 92524752
	s_mul_i32 s61, s60, s61                                    // 00000000BE04: 923D3D3C
	s_add_u32 s82, s82, s61                                    // 00000000BE08: 80523D52
	v_mul_lo_u32 v6, v5, s82                                   // 00000000BE0C: D2850006 0000A505
	v_readlane_b32 s82, v3, 11                                 // 00000000BE14: D2890052 00011703
	s_lshr_b32 s61, s82, 24                                    // 00000000BE1C: 8F3D9852
	s_and_b32 s82, s82, 0xffffff                               // 00000000BE20: 8652FF52 00FFFFFF
	s_mul_i32 s82, s82, s71                                    // 00000000BE28: 92524752
	s_mul_i32 s61, s60, s61                                    // 00000000BE2C: 923D3D3C
	s_add_u32 s82, s82, s61                                    // 00000000BE30: 80523D52
	v_mul_lo_u32 v7, v4, s82                                   // 00000000BE34: D2850007 0000A504
	v_add_u32_e32 v61, v6, v7                                  // 00000000BE3C: 687A0F06
	v_readlane_b32 s82, v3, 12                                 // 00000000BE40: D2890052 00011903
	s_lshr_b32 s61, s82, 24                                    // 00000000BE48: 8F3D9852
	s_and_b32 s82, s82, 0xffffff                               // 00000000BE4C: 8652FF52 00FFFFFF
	s_mul_i32 s82, s82, s71                                    // 00000000BE54: 92524752
	s_mul_i32 s61, s60, s61                                    // 00000000BE58: 923D3D3C
	s_add_u32 s82, s82, s61                                    // 00000000BE5C: 80523D52
	v_mul_lo_u32 v6, v5, s82                                   // 00000000BE60: D2850006 0000A505
	v_readlane_b32 s82, v3, 13                                 // 00000000BE68: D2890052 00011B03
	s_lshr_b32 s61, s82, 24                                    // 00000000BE70: 8F3D9852
	s_and_b32 s82, s82, 0xffffff                               // 00000000BE74: 8652FF52 00FFFFFF
	s_mul_i32 s82, s82, s71                                    // 00000000BE7C: 92524752
	s_mul_i32 s61, s60, s61                                    // 00000000BE80: 923D3D3C
	s_add_u32 s82, s82, s61                                    // 00000000BE84: 80523D52
	v_mul_lo_u32 v7, v4, s82                                   // 00000000BE88: D2850007 0000A504
	v_add_u32_e32 v62, v6, v7                                  // 00000000BE90: 687C0F06
	v_readlane_b32 s82, v3, 14                                 // 00000000BE94: D2890052 00011D03
	s_lshr_b32 s61, s82, 24                                    // 00000000BE9C: 8F3D9852
	s_and_b32 s82, s82, 0xffffff                               // 00000000BEA0: 8652FF52 00FFFFFF
	s_mul_i32 s82, s82, s71                                    // 00000000BEA8: 92524752
	s_mul_i32 s61, s60, s61                                    // 00000000BEAC: 923D3D3C
	s_add_u32 s82, s82, s61                                    // 00000000BEB0: 80523D52
	v_mul_lo_u32 v6, v5, s82                                   // 00000000BEB4: D2850006 0000A505
	v_readlane_b32 s82, v3, 15                                 // 00000000BEBC: D2890052 00011F03
	s_lshr_b32 s61, s82, 24                                    // 00000000BEC4: 8F3D9852
	s_and_b32 s82, s82, 0xffffff                               // 00000000BEC8: 8652FF52 00FFFFFF
	s_mul_i32 s82, s82, s71                                    // 00000000BED0: 92524752
	s_mul_i32 s61, s60, s61                                    // 00000000BED4: 923D3D3C
	s_add_u32 s82, s82, s61                                    // 00000000BED8: 80523D52
	v_mul_lo_u32 v7, v4, s82                                   // 00000000BEDC: D2850007 0000A504
	v_add_u32_e32 v63, v6, v7                                  // 00000000BEE4: 687E0F06
	v_readlane_b32 s82, v3, 16                                 // 00000000BEE8: D2890052 00012103
	s_lshr_b32 s61, s82, 24                                    // 00000000BEF0: 8F3D9852
	s_and_b32 s82, s82, 0xffffff                               // 00000000BEF4: 8652FF52 00FFFFFF
	s_mul_i32 s82, s82, s71                                    // 00000000BEFC: 92524752
	s_mul_i32 s61, s60, s61                                    // 00000000BF00: 923D3D3C
	s_add_u32 s82, s82, s61                                    // 00000000BF04: 80523D52
	v_mul_lo_u32 v6, v5, s82                                   // 00000000BF08: D2850006 0000A505
	v_readlane_b32 s82, v3, 17                                 // 00000000BF10: D2890052 00012303
	s_lshr_b32 s61, s82, 24                                    // 00000000BF18: 8F3D9852
	s_and_b32 s82, s82, 0xffffff                               // 00000000BF1C: 8652FF52 00FFFFFF
	s_mul_i32 s82, s82, s71                                    // 00000000BF24: 92524752
	s_mul_i32 s61, s60, s61                                    // 00000000BF28: 923D3D3C
	s_add_u32 s82, s82, s61                                    // 00000000BF2C: 80523D52
	v_mul_lo_u32 v7, v4, s82                                   // 00000000BF30: D2850007 0000A504
	v_add_u32_e32 v64, v6, v7                                  // 00000000BF38: 68800F06
	v_readlane_b32 s82, v3, 18                                 // 00000000BF3C: D2890052 00012503
	s_lshr_b32 s61, s82, 24                                    // 00000000BF44: 8F3D9852
	s_and_b32 s82, s82, 0xffffff                               // 00000000BF48: 8652FF52 00FFFFFF
	s_mul_i32 s82, s82, s71                                    // 00000000BF50: 92524752
	s_mul_i32 s61, s60, s61                                    // 00000000BF54: 923D3D3C
	s_add_u32 s82, s82, s61                                    // 00000000BF58: 80523D52
	v_mul_lo_u32 v6, v5, s82                                   // 00000000BF5C: D2850006 0000A505
	v_readlane_b32 s82, v3, 19                                 // 00000000BF64: D2890052 00012703
	s_lshr_b32 s61, s82, 24                                    // 00000000BF6C: 8F3D9852
	s_and_b32 s82, s82, 0xffffff                               // 00000000BF70: 8652FF52 00FFFFFF
	s_mul_i32 s82, s82, s71                                    // 00000000BF78: 92524752
	s_mul_i32 s61, s60, s61                                    // 00000000BF7C: 923D3D3C
	s_add_u32 s82, s82, s61                                    // 00000000BF80: 80523D52
	v_mul_lo_u32 v7, v4, s82                                   // 00000000BF84: D2850007 0000A504
	v_add_u32_e32 v65, v6, v7                                  // 00000000BF8C: 68820F06
	v_readlane_b32 s82, v3, 20                                 // 00000000BF90: D2890052 00012903
	s_lshr_b32 s61, s82, 24                                    // 00000000BF98: 8F3D9852
	s_and_b32 s82, s82, 0xffffff                               // 00000000BF9C: 8652FF52 00FFFFFF
	s_mul_i32 s82, s82, s71                                    // 00000000BFA4: 92524752
	s_mul_i32 s61, s60, s61                                    // 00000000BFA8: 923D3D3C
	s_add_u32 s82, s82, s61                                    // 00000000BFAC: 80523D52
	v_mul_lo_u32 v6, v5, s82                                   // 00000000BFB0: D2850006 0000A505
	v_readlane_b32 s82, v3, 21                                 // 00000000BFB8: D2890052 00012B03
	s_lshr_b32 s61, s82, 24                                    // 00000000BFC0: 8F3D9852
	s_and_b32 s82, s82, 0xffffff                               // 00000000BFC4: 8652FF52 00FFFFFF
	s_mul_i32 s82, s82, s71                                    // 00000000BFCC: 92524752
	s_mul_i32 s61, s60, s61                                    // 00000000BFD0: 923D3D3C
	s_add_u32 s82, s82, s61                                    // 00000000BFD4: 80523D52
	v_mul_lo_u32 v7, v4, s82                                   // 00000000BFD8: D2850007 0000A504
	v_add_u32_e32 v66, v6, v7                                  // 00000000BFE0: 68840F06
	v_readlane_b32 s82, v3, 22                                 // 00000000BFE4: D2890052 00012D03
	s_lshr_b32 s61, s82, 24                                    // 00000000BFEC: 8F3D9852
	s_and_b32 s82, s82, 0xffffff                               // 00000000BFF0: 8652FF52 00FFFFFF
	s_mul_i32 s82, s82, s71                                    // 00000000BFF8: 92524752
	s_mul_i32 s61, s60, s61                                    // 00000000BFFC: 923D3D3C
	s_add_u32 s82, s82, s61                                    // 00000000C000: 80523D52
	v_mul_lo_u32 v6, v5, s82                                   // 00000000C004: D2850006 0000A505
	v_readlane_b32 s82, v3, 23                                 // 00000000C00C: D2890052 00012F03
	s_lshr_b32 s61, s82, 24                                    // 00000000C014: 8F3D9852
	s_and_b32 s82, s82, 0xffffff                               // 00000000C018: 8652FF52 00FFFFFF
	s_mul_i32 s82, s82, s71                                    // 00000000C020: 92524752
	s_mul_i32 s61, s60, s61                                    // 00000000C024: 923D3D3C
	s_add_u32 s82, s82, s61                                    // 00000000C028: 80523D52
	v_mul_lo_u32 v7, v4, s82                                   // 00000000C02C: D2850007 0000A504
	v_add_u32_e32 v67, v6, v7                                  // 00000000C034: 68860F06
	v_readlane_b32 s82, v3, 24                                 // 00000000C038: D2890052 00013103
	s_lshr_b32 s61, s82, 24                                    // 00000000C040: 8F3D9852
	s_and_b32 s82, s82, 0xffffff                               // 00000000C044: 8652FF52 00FFFFFF
	s_mul_i32 s82, s82, s71                                    // 00000000C04C: 92524752
	s_mul_i32 s61, s60, s61                                    // 00000000C050: 923D3D3C
	s_add_u32 s82, s82, s61                                    // 00000000C054: 80523D52
	v_mul_lo_u32 v6, v5, s82                                   // 00000000C058: D2850006 0000A505
	v_readlane_b32 s82, v3, 25                                 // 00000000C060: D2890052 00013303
	s_lshr_b32 s61, s82, 24                                    // 00000000C068: 8F3D9852
	s_and_b32 s82, s82, 0xffffff                               // 00000000C06C: 8652FF52 00FFFFFF
	s_mul_i32 s82, s82, s71                                    // 00000000C074: 92524752
	s_mul_i32 s61, s60, s61                                    // 00000000C078: 923D3D3C
	s_add_u32 s82, s82, s61                                    // 00000000C07C: 80523D52
	v_mul_lo_u32 v7, v4, s82                                   // 00000000C080: D2850007 0000A504
	v_add_u32_e32 v68, v6, v7                                  // 00000000C088: 68880F06
	v_readlane_b32 s82, v3, 26                                 // 00000000C08C: D2890052 00013503
	s_lshr_b32 s61, s82, 24                                    // 00000000C094: 8F3D9852
	s_and_b32 s82, s82, 0xffffff                               // 00000000C098: 8652FF52 00FFFFFF
	s_mul_i32 s82, s82, s71                                    // 00000000C0A0: 92524752
	s_mul_i32 s61, s60, s61                                    // 00000000C0A4: 923D3D3C
	s_add_u32 s82, s82, s61                                    // 00000000C0A8: 80523D52
	v_mul_lo_u32 v6, v5, s82                                   // 00000000C0AC: D2850006 0000A505
	v_readlane_b32 s82, v3, 27                                 // 00000000C0B4: D2890052 00013703
	s_lshr_b32 s61, s82, 24                                    // 00000000C0BC: 8F3D9852
	s_and_b32 s82, s82, 0xffffff                               // 00000000C0C0: 8652FF52 00FFFFFF
	s_mul_i32 s82, s82, s71                                    // 00000000C0C8: 92524752
	s_mul_i32 s61, s60, s61                                    // 00000000C0CC: 923D3D3C
	s_add_u32 s82, s82, s61                                    // 00000000C0D0: 80523D52
	v_mul_lo_u32 v7, v4, s82                                   // 00000000C0D4: D2850007 0000A504
	v_add_u32_e32 v69, v6, v7                                  // 00000000C0DC: 688A0F06
	v_and_b32_e32 v4, 31, v0                                   // 00000000C0E0: 2608009F
	v_lshrrev_b32_e32 v4, 1, v4                                // 00000000C0E4: 20080881
	s_cmp_eq_u32 s88, 0                                        // 00000000C0E8: BF068058
	s_cselect_b32 s61, 2, 4                                    // 00000000C0EC: 853D8482
	v_mul_lo_u32 v4, v4, s61                                   // 00000000C0F0: D2850004 00007B04
	v_and_b32_e64 v5, v0, 1                                    // 00000000C0F8: D1130005 00010300
	v_add_u32_e32 v4, v4, v5                                   // 00000000C100: 68080B04
	v_lshlrev_b32_e32 v4, 2, v4                                // 00000000C104: 24080882
	v_add_u32_e32 v56, v56, v4                                 // 00000000C108: 68700938
	v_add_u32_e32 v57, v57, v4                                 // 00000000C10C: 68720939
	v_add_u32_e32 v58, v58, v4                                 // 00000000C110: 6874093A
	v_add_u32_e32 v59, v59, v4                                 // 00000000C114: 6876093B
	v_add_u32_e32 v60, v60, v4                                 // 00000000C118: 6878093C
	v_add_u32_e32 v61, v61, v4                                 // 00000000C11C: 687A093D
	v_add_u32_e32 v62, v62, v4                                 // 00000000C120: 687C093E
	v_add_u32_e32 v63, v63, v4                                 // 00000000C124: 687E093F
	v_add_u32_e32 v64, v64, v4                                 // 00000000C128: 68800940
	v_add_u32_e32 v65, v65, v4                                 // 00000000C12C: 68820941
	v_add_u32_e32 v66, v66, v4                                 // 00000000C130: 68840942
	v_add_u32_e32 v67, v67, v4                                 // 00000000C134: 68860943
	v_add_u32_e32 v68, v68, v4                                 // 00000000C138: 68880944
	v_add_u32_e32 v69, v69, v4                                 // 00000000C13C: 688A0945
	s_waitcnt lgkmcnt(0)                                       // 00000000C140: BF8CC07F
	s_barrier                                                  // 00000000C144: BF8A0000
	ds_read_b32 v72, v21                                       // 00000000C148: D86C0000 48000015
	ds_read_b32 v73, v21 offset:64                             // 00000000C150: D86C0040 49000015
	ds_read_b32 v74, v21 offset:2176                           // 00000000C158: D86C0880 4A000015
	ds_read_b32 v75, v21 offset:2240                           // 00000000C160: D86C08C0 4B000015
	ds_read_b32 v76, v21 offset:4352                           // 00000000C168: D86C1100 4C000015
	ds_read_b32 v77, v21 offset:4416                           // 00000000C170: D86C1140 4D000015
	ds_read_b32 v78, v21 offset:6528                           // 00000000C178: D86C1980 4E000015
	ds_read_b32 v79, v21 offset:6592                           // 00000000C180: D86C19C0 4F000015
	ds_read_b32 v80, v21 offset:8704                           // 00000000C188: D86C2200 50000015
	ds_read_b32 v81, v21 offset:8768                           // 00000000C190: D86C2240 51000015
	ds_read_b32 v82, v21 offset:10880                          // 00000000C198: D86C2A80 52000015
	ds_read_b32 v83, v21 offset:10944                          // 00000000C1A0: D86C2AC0 53000015
	ds_read_b32 v84, v21 offset:13056                          // 00000000C1A8: D86C3300 54000015
	ds_read_b32 v85, v21 offset:13120                          // 00000000C1B0: D86C3340 55000015
	s_waitcnt lgkmcnt(0)                                       // 00000000C1B8: BF8CC07F
	s_mov_b32 s36, -1                                          // 00000000C1BC: BEA400C1
	s_mov_b32 s37, -1                                          // 00000000C1C0: BEA500C1
	v_mov_b32_e32 v7, 0                                        // 00000000C1C4: 7E0E0280
	s_or_b32 s9, s9, 0x40000                                   // 00000000C1C8: 8709FF09 00040000
	s_mov_b64 exec, s[36:37]                                   // 00000000C1D0: BEFE0124
	v_mov_b32_e32 v6, v56                                      // 00000000C1D4: 7E0C0338
	s_mov_b64 s[60:61], 0                                      // 00000000C1D8: BEBC0180
	v_readlane_b32 s82, v3, 0                                  // 00000000C1DC: D2890052 00010103
	s_and_b32 s82, s82, 0xffffff                               // 00000000C1E4: 8652FF52 00FFFFFF
	s_cmp_lt_u32 s82, s66                                      // 00000000C1EC: BF0A4252
	s_cselect_b32 s20, s36, s60                                // 00000000C1F0: 85143C24
	v_readlane_b32 s82, v3, 1                                  // 00000000C1F4: D2890052 00010303
	s_and_b32 s82, s82, 0xffffff                               // 00000000C1FC: 8652FF52 00FFFFFF
	s_cmp_lt_u32 s82, s66                                      // 00000000C204: BF0A4252
	s_cselect_b32 s21, s36, s60                                // 00000000C208: 85153C24
	s_mov_b64 exec, s[20:21]                                   // 00000000C20C: BEFE0114
	buffer_store_dword v72, v6, s[8:11], 0 offen               // 00000000C210: E0701000 80024806
	s_mov_b64 exec, s[36:37]                                   // 00000000C218: BEFE0124
	v_mov_b32_e32 v6, v57                                      // 00000000C21C: 7E0C0339
	s_mov_b64 s[60:61], 0                                      // 00000000C220: BEBC0180
	v_readlane_b32 s82, v3, 2                                  // 00000000C224: D2890052 00010503
	s_and_b32 s82, s82, 0xffffff                               // 00000000C22C: 8652FF52 00FFFFFF
	s_cmp_lt_u32 s82, s66                                      // 00000000C234: BF0A4252
	s_cselect_b32 s20, s36, s60                                // 00000000C238: 85143C24
	v_readlane_b32 s82, v3, 3                                  // 00000000C23C: D2890052 00010703
	s_and_b32 s82, s82, 0xffffff                               // 00000000C244: 8652FF52 00FFFFFF
	s_cmp_lt_u32 s82, s66                                      // 00000000C24C: BF0A4252
	s_cselect_b32 s21, s36, s60                                // 00000000C250: 85153C24
	s_mov_b64 exec, s[20:21]                                   // 00000000C254: BEFE0114
	buffer_store_dword v73, v6, s[8:11], 0 offen               // 00000000C258: E0701000 80024906
	s_mov_b64 exec, s[36:37]                                   // 00000000C260: BEFE0124
	v_mov_b32_e32 v6, v58                                      // 00000000C264: 7E0C033A
	s_mov_b64 s[60:61], 0                                      // 00000000C268: BEBC0180
	v_readlane_b32 s82, v3, 4                                  // 00000000C26C: D2890052 00010903
	s_and_b32 s82, s82, 0xffffff                               // 00000000C274: 8652FF52 00FFFFFF
	s_cmp_lt_u32 s82, s66                                      // 00000000C27C: BF0A4252
	s_cselect_b32 s20, s36, s60                                // 00000000C280: 85143C24
	v_readlane_b32 s82, v3, 5                                  // 00000000C284: D2890052 00010B03
	s_and_b32 s82, s82, 0xffffff                               // 00000000C28C: 8652FF52 00FFFFFF
	s_cmp_lt_u32 s82, s66                                      // 00000000C294: BF0A4252
	s_cselect_b32 s21, s36, s60                                // 00000000C298: 85153C24
	s_mov_b64 exec, s[20:21]                                   // 00000000C29C: BEFE0114
	buffer_store_dword v74, v6, s[8:11], 0 offen               // 00000000C2A0: E0701000 80024A06
	s_mov_b64 exec, s[36:37]                                   // 00000000C2A8: BEFE0124
	v_mov_b32_e32 v6, v59                                      // 00000000C2AC: 7E0C033B
	s_mov_b64 s[60:61], 0                                      // 00000000C2B0: BEBC0180
	v_readlane_b32 s82, v3, 6                                  // 00000000C2B4: D2890052 00010D03
	s_and_b32 s82, s82, 0xffffff                               // 00000000C2BC: 8652FF52 00FFFFFF
	s_cmp_lt_u32 s82, s66                                      // 00000000C2C4: BF0A4252
	s_cselect_b32 s20, s36, s60                                // 00000000C2C8: 85143C24
	v_readlane_b32 s82, v3, 7                                  // 00000000C2CC: D2890052 00010F03
	s_and_b32 s82, s82, 0xffffff                               // 00000000C2D4: 8652FF52 00FFFFFF
	s_cmp_lt_u32 s82, s66                                      // 00000000C2DC: BF0A4252
	s_cselect_b32 s21, s36, s60                                // 00000000C2E0: 85153C24
	s_mov_b64 exec, s[20:21]                                   // 00000000C2E4: BEFE0114
	buffer_store_dword v75, v6, s[8:11], 0 offen               // 00000000C2E8: E0701000 80024B06
	s_mov_b64 exec, s[36:37]                                   // 00000000C2F0: BEFE0124
	v_mov_b32_e32 v6, v60                                      // 00000000C2F4: 7E0C033C
	s_mov_b64 s[60:61], 0                                      // 00000000C2F8: BEBC0180
	v_readlane_b32 s82, v3, 8                                  // 00000000C2FC: D2890052 00011103
	s_and_b32 s82, s82, 0xffffff                               // 00000000C304: 8652FF52 00FFFFFF
	s_cmp_lt_u32 s82, s66                                      // 00000000C30C: BF0A4252
	s_cselect_b32 s20, s36, s60                                // 00000000C310: 85143C24
	v_readlane_b32 s82, v3, 9                                  // 00000000C314: D2890052 00011303
	s_and_b32 s82, s82, 0xffffff                               // 00000000C31C: 8652FF52 00FFFFFF
	s_cmp_lt_u32 s82, s66                                      // 00000000C324: BF0A4252
	s_cselect_b32 s21, s36, s60                                // 00000000C328: 85153C24
	s_mov_b64 exec, s[20:21]                                   // 00000000C32C: BEFE0114
	buffer_store_dword v76, v6, s[8:11], 0 offen               // 00000000C330: E0701000 80024C06
	s_mov_b64 exec, s[36:37]                                   // 00000000C338: BEFE0124
	v_mov_b32_e32 v6, v61                                      // 00000000C33C: 7E0C033D
	s_mov_b64 s[60:61], 0                                      // 00000000C340: BEBC0180
	v_readlane_b32 s82, v3, 10                                 // 00000000C344: D2890052 00011503
	s_and_b32 s82, s82, 0xffffff                               // 00000000C34C: 8652FF52 00FFFFFF
	s_cmp_lt_u32 s82, s66                                      // 00000000C354: BF0A4252
	s_cselect_b32 s20, s36, s60                                // 00000000C358: 85143C24
	v_readlane_b32 s82, v3, 11                                 // 00000000C35C: D2890052 00011703
	s_and_b32 s82, s82, 0xffffff                               // 00000000C364: 8652FF52 00FFFFFF
	s_cmp_lt_u32 s82, s66                                      // 00000000C36C: BF0A4252
	s_cselect_b32 s21, s36, s60                                // 00000000C370: 85153C24
	s_mov_b64 exec, s[20:21]                                   // 00000000C374: BEFE0114
	buffer_store_dword v77, v6, s[8:11], 0 offen               // 00000000C378: E0701000 80024D06
	s_mov_b64 exec, s[36:37]                                   // 00000000C380: BEFE0124
	v_mov_b32_e32 v6, v62                                      // 00000000C384: 7E0C033E
	s_mov_b64 s[60:61], 0                                      // 00000000C388: BEBC0180
	v_readlane_b32 s82, v3, 12                                 // 00000000C38C: D2890052 00011903
	s_and_b32 s82, s82, 0xffffff                               // 00000000C394: 8652FF52 00FFFFFF
	s_cmp_lt_u32 s82, s66                                      // 00000000C39C: BF0A4252
	s_cselect_b32 s20, s36, s60                                // 00000000C3A0: 85143C24
	v_readlane_b32 s82, v3, 13                                 // 00000000C3A4: D2890052 00011B03
	s_and_b32 s82, s82, 0xffffff                               // 00000000C3AC: 8652FF52 00FFFFFF
	s_cmp_lt_u32 s82, s66                                      // 00000000C3B4: BF0A4252
	s_cselect_b32 s21, s36, s60                                // 00000000C3B8: 85153C24
	s_mov_b64 exec, s[20:21]                                   // 00000000C3BC: BEFE0114
	buffer_store_dword v78, v6, s[8:11], 0 offen               // 00000000C3C0: E0701000 80024E06
	s_mov_b64 exec, s[36:37]                                   // 00000000C3C8: BEFE0124
	v_mov_b32_e32 v6, v63                                      // 00000000C3CC: 7E0C033F
	s_mov_b64 s[60:61], 0                                      // 00000000C3D0: BEBC0180
	v_readlane_b32 s82, v3, 14                                 // 00000000C3D4: D2890052 00011D03
	s_and_b32 s82, s82, 0xffffff                               // 00000000C3DC: 8652FF52 00FFFFFF
	s_cmp_lt_u32 s82, s66                                      // 00000000C3E4: BF0A4252
	s_cselect_b32 s20, s36, s60                                // 00000000C3E8: 85143C24
	v_readlane_b32 s82, v3, 15                                 // 00000000C3EC: D2890052 00011F03
	s_and_b32 s82, s82, 0xffffff                               // 00000000C3F4: 8652FF52 00FFFFFF
	s_cmp_lt_u32 s82, s66                                      // 00000000C3FC: BF0A4252
	s_cselect_b32 s21, s36, s60                                // 00000000C400: 85153C24
	s_mov_b64 exec, s[20:21]                                   // 00000000C404: BEFE0114
	buffer_store_dword v79, v6, s[8:11], 0 offen               // 00000000C408: E0701000 80024F06
	s_mov_b64 exec, s[36:37]                                   // 00000000C410: BEFE0124
	v_mov_b32_e32 v6, v64                                      // 00000000C414: 7E0C0340
	s_mov_b64 s[60:61], 0                                      // 00000000C418: BEBC0180
	v_readlane_b32 s82, v3, 16                                 // 00000000C41C: D2890052 00012103
	s_and_b32 s82, s82, 0xffffff                               // 00000000C424: 8652FF52 00FFFFFF
	s_cmp_lt_u32 s82, s66                                      // 00000000C42C: BF0A4252
	s_cselect_b32 s20, s36, s60                                // 00000000C430: 85143C24
	v_readlane_b32 s82, v3, 17                                 // 00000000C434: D2890052 00012303
	s_and_b32 s82, s82, 0xffffff                               // 00000000C43C: 8652FF52 00FFFFFF
	s_cmp_lt_u32 s82, s66                                      // 00000000C444: BF0A4252
	s_cselect_b32 s21, s36, s60                                // 00000000C448: 85153C24
	s_mov_b64 exec, s[20:21]                                   // 00000000C44C: BEFE0114
	buffer_store_dword v80, v6, s[8:11], 0 offen               // 00000000C450: E0701000 80025006
	s_mov_b64 exec, s[36:37]                                   // 00000000C458: BEFE0124
	v_mov_b32_e32 v6, v65                                      // 00000000C45C: 7E0C0341
	s_mov_b64 s[60:61], 0                                      // 00000000C460: BEBC0180
	v_readlane_b32 s82, v3, 18                                 // 00000000C464: D2890052 00012503
	s_and_b32 s82, s82, 0xffffff                               // 00000000C46C: 8652FF52 00FFFFFF
	s_cmp_lt_u32 s82, s66                                      // 00000000C474: BF0A4252
	s_cselect_b32 s20, s36, s60                                // 00000000C478: 85143C24
	v_readlane_b32 s82, v3, 19                                 // 00000000C47C: D2890052 00012703
	s_and_b32 s82, s82, 0xffffff                               // 00000000C484: 8652FF52 00FFFFFF
	s_cmp_lt_u32 s82, s66                                      // 00000000C48C: BF0A4252
	s_cselect_b32 s21, s36, s60                                // 00000000C490: 85153C24
	s_mov_b64 exec, s[20:21]                                   // 00000000C494: BEFE0114
	buffer_store_dword v81, v6, s[8:11], 0 offen               // 00000000C498: E0701000 80025106
	s_mov_b64 exec, s[36:37]                                   // 00000000C4A0: BEFE0124
	v_mov_b32_e32 v6, v66                                      // 00000000C4A4: 7E0C0342
	s_mov_b64 s[60:61], 0                                      // 00000000C4A8: BEBC0180
	v_readlane_b32 s82, v3, 20                                 // 00000000C4AC: D2890052 00012903
	s_and_b32 s82, s82, 0xffffff                               // 00000000C4B4: 8652FF52 00FFFFFF
	s_cmp_lt_u32 s82, s66                                      // 00000000C4BC: BF0A4252
	s_cselect_b32 s20, s36, s60                                // 00000000C4C0: 85143C24
	v_readlane_b32 s82, v3, 21                                 // 00000000C4C4: D2890052 00012B03
	s_and_b32 s82, s82, 0xffffff                               // 00000000C4CC: 8652FF52 00FFFFFF
	s_cmp_lt_u32 s82, s66                                      // 00000000C4D4: BF0A4252
	s_cselect_b32 s21, s36, s60                                // 00000000C4D8: 85153C24
	s_mov_b64 exec, s[20:21]                                   // 00000000C4DC: BEFE0114
	buffer_store_dword v82, v6, s[8:11], 0 offen               // 00000000C4E0: E0701000 80025206
	s_mov_b64 exec, s[36:37]                                   // 00000000C4E8: BEFE0124
	v_mov_b32_e32 v6, v67                                      // 00000000C4EC: 7E0C0343
	s_mov_b64 s[60:61], 0                                      // 00000000C4F0: BEBC0180
	v_readlane_b32 s82, v3, 22                                 // 00000000C4F4: D2890052 00012D03
	s_and_b32 s82, s82, 0xffffff                               // 00000000C4FC: 8652FF52 00FFFFFF
	s_cmp_lt_u32 s82, s66                                      // 00000000C504: BF0A4252
	s_cselect_b32 s20, s36, s60                                // 00000000C508: 85143C24
	v_readlane_b32 s82, v3, 23                                 // 00000000C50C: D2890052 00012F03
	s_and_b32 s82, s82, 0xffffff                               // 00000000C514: 8652FF52 00FFFFFF
	s_cmp_lt_u32 s82, s66                                      // 00000000C51C: BF0A4252
	s_cselect_b32 s21, s36, s60                                // 00000000C520: 85153C24
	s_mov_b64 exec, s[20:21]                                   // 00000000C524: BEFE0114
	buffer_store_dword v83, v6, s[8:11], 0 offen               // 00000000C528: E0701000 80025306
	s_mov_b64 exec, s[36:37]                                   // 00000000C530: BEFE0124
	v_mov_b32_e32 v6, v68                                      // 00000000C534: 7E0C0344
	s_mov_b64 s[60:61], 0                                      // 00000000C538: BEBC0180
	v_readlane_b32 s82, v3, 24                                 // 00000000C53C: D2890052 00013103
	s_and_b32 s82, s82, 0xffffff                               // 00000000C544: 8652FF52 00FFFFFF
	s_cmp_lt_u32 s82, s66                                      // 00000000C54C: BF0A4252
	s_cselect_b32 s20, s36, s60                                // 00000000C550: 85143C24
	v_readlane_b32 s82, v3, 25                                 // 00000000C554: D2890052 00013303
	s_and_b32 s82, s82, 0xffffff                               // 00000000C55C: 8652FF52 00FFFFFF
	s_cmp_lt_u32 s82, s66                                      // 00000000C564: BF0A4252
	s_cselect_b32 s21, s36, s60                                // 00000000C568: 85153C24
	s_mov_b64 exec, s[20:21]                                   // 00000000C56C: BEFE0114
	buffer_store_dword v84, v6, s[8:11], 0 offen               // 00000000C570: E0701000 80025406
	s_mov_b64 exec, s[36:37]                                   // 00000000C578: BEFE0124
	v_mov_b32_e32 v6, v69                                      // 00000000C57C: 7E0C0345
	s_mov_b64 s[60:61], 0                                      // 00000000C580: BEBC0180
	v_readlane_b32 s82, v3, 26                                 // 00000000C584: D2890052 00013503
	s_and_b32 s82, s82, 0xffffff                               // 00000000C58C: 8652FF52 00FFFFFF
	s_cmp_lt_u32 s82, s66                                      // 00000000C594: BF0A4252
	s_cselect_b32 s20, s36, s60                                // 00000000C598: 85143C24
	v_readlane_b32 s82, v3, 27                                 // 00000000C59C: D2890052 00013703
	s_and_b32 s82, s82, 0xffffff                               // 00000000C5A4: 8652FF52 00FFFFFF
	s_cmp_lt_u32 s82, s66                                      // 00000000C5AC: BF0A4252
	s_cselect_b32 s21, s36, s60                                // 00000000C5B0: 85153C24
	s_mov_b64 exec, s[20:21]                                   // 00000000C5B4: BEFE0114
	buffer_store_dword v85, v6, s[8:11], 0 offen               // 00000000C5B8: E0701000 80025506
	s_mov_b64 exec, s[36:37]                                   // 00000000C5C0: BEFE0124
	s_cmp_eq_u32 s7, 0                                         // 00000000C5C4: BF068007
	s_cbranch_scc0 label_2E60                                  // 00000000C5C8: BF84076A
	s_waitcnt vmcnt(14)                                        // 00000000C5CC: BF8C0F7E
	s_mov_b32 s8, s90                                          // 00000000C5D0: BE88005A
	s_mov_b32 s9, s91                                          // 00000000C5D4: BE89005B
	s_mul_i32 s60, s66, s71                                    // 00000000C5D8: 923C4742
	s_add_u32 s8, s60, s8                                      // 00000000C5DC: 8008083C
	s_addc_u32 s9, 0, s9                                       // 00000000C5E0: 82090980
	s_lshr_b32 s71, s71, 5                                     // 00000000C5E4: 8F478547
	s_mul_i32 s60, s66, s71                                    // 00000000C5E8: 923C4742
	s_mov_b32 s10, s60                                         // 00000000C5EC: BE8A003C
	s_lshr_b32 s61, s65, 5                                     // 00000000C5F0: 8F3D8541
	s_mul_i32 s60, s2, 4                                       // 00000000C5F4: 923C8402
	v_lshrrev_b32_e32 v4, 24, v28                              // 00000000C5F8: 20083898
	v_mul_lo_u32 v4, s61, v4                                   // 00000000C5FC: D2850004 0002083D
	v_and_b32_e32 v28, 0xffffff, v28                           // 00000000C604: 263838FF 00FFFFFF
	v_mul_lo_u32 v28, s71, v28                                 // 00000000C60C: D285001C 00023847
	v_add_u32_e32 v28, v4, v28                                 // 00000000C614: 68383904
	v_add_u32_e32 v28, s60, v28                                // 00000000C618: 6838383C
	v_lshrrev_b32_e32 v4, 24, v29                              // 00000000C61C: 20083A98
	v_mul_lo_u32 v4, s61, v4                                   // 00000000C620: D2850004 0002083D
	v_and_b32_e32 v29, 0xffffff, v29                           // 00000000C628: 263A3AFF 00FFFFFF
	v_mul_lo_u32 v29, s71, v29                                 // 00000000C630: D285001D 00023A47
	v_add_u32_e32 v29, v4, v29                                 // 00000000C638: 683A3B04
	v_add_u32_e32 v29, s60, v29                                // 00000000C63C: 683A3A3C
	v_lshrrev_b32_e32 v4, 24, v30                              // 00000000C640: 20083C98
	v_mul_lo_u32 v4, s61, v4                                   // 00000000C644: D2850004 0002083D
	v_and_b32_e32 v30, 0xffffff, v30                           // 00000000C64C: 263C3CFF 00FFFFFF
	v_mul_lo_u32 v30, s71, v30                                 // 00000000C654: D285001E 00023C47
	v_add_u32_e32 v30, v4, v30                                 // 00000000C65C: 683C3D04
	v_add_u32_e32 v30, s60, v30                                // 00000000C660: 683C3C3C
	v_lshrrev_b32_e32 v4, 24, v31                              // 00000000C664: 20083E98
	v_mul_lo_u32 v4, s61, v4                                   // 00000000C668: D2850004 0002083D
	v_and_b32_e32 v31, 0xffffff, v31                           // 00000000C670: 263E3EFF 00FFFFFF
	v_mul_lo_u32 v31, s71, v31                                 // 00000000C678: D285001F 00023E47
	v_add_u32_e32 v31, v4, v31                                 // 00000000C680: 683E3F04
	v_add_u32_e32 v31, s60, v31                                // 00000000C684: 683E3E3C
	v_lshrrev_b32_e32 v4, 24, v32                              // 00000000C688: 20084098
	v_mul_lo_u32 v4, s61, v4                                   // 00000000C68C: D2850004 0002083D
	v_and_b32_e32 v32, 0xffffff, v32                           // 00000000C694: 264040FF 00FFFFFF
	v_mul_lo_u32 v32, s71, v32                                 // 00000000C69C: D2850020 00024047
	v_add_u32_e32 v32, v4, v32                                 // 00000000C6A4: 68404104
	v_add_u32_e32 v32, s60, v32                                // 00000000C6A8: 6840403C
	v_lshrrev_b32_e32 v4, 24, v33                              // 00000000C6AC: 20084298
	v_mul_lo_u32 v4, s61, v4                                   // 00000000C6B0: D2850004 0002083D
	v_and_b32_e32 v33, 0xffffff, v33                           // 00000000C6B8: 264242FF 00FFFFFF
	v_mul_lo_u32 v33, s71, v33                                 // 00000000C6C0: D2850021 00024247
	v_add_u32_e32 v33, v4, v33                                 // 00000000C6C8: 68424304
	v_add_u32_e32 v33, s60, v33                                // 00000000C6CC: 6842423C
	v_lshrrev_b32_e32 v4, 24, v34                              // 00000000C6D0: 20084498
	v_mul_lo_u32 v4, s61, v4                                   // 00000000C6D4: D2850004 0002083D
	v_and_b32_e32 v34, 0xffffff, v34                           // 00000000C6DC: 264444FF 00FFFFFF
	v_mul_lo_u32 v34, s71, v34                                 // 00000000C6E4: D2850022 00024447
	v_add_u32_e32 v34, v4, v34                                 // 00000000C6EC: 68444504
	v_add_u32_e32 v34, s60, v34                                // 00000000C6F0: 6844443C
	s_mov_b64 exec, 0xffff                                     // 00000000C6F4: BEFE01FF 0000FFFF
	buffer_store_dword v128, v28, s[8:11], 0 offen             // 00000000C6FC: E0701000 8002801C
	buffer_store_dword v129, v29, s[8:11], 0 offen             // 00000000C704: E0701000 8002811D
	buffer_store_dword v130, v30, s[8:11], 0 offen             // 00000000C70C: E0701000 8002821E
	buffer_store_dword v131, v31, s[8:11], 0 offen             // 00000000C714: E0701000 8002831F
	buffer_store_dword v132, v32, s[8:11], 0 offen             // 00000000C71C: E0701000 80028420
	buffer_store_dword v133, v33, s[8:11], 0 offen             // 00000000C724: E0701000 80028521
	buffer_store_dword v134, v34, s[8:11], 0 offen             // 00000000C72C: E0701000 80028622
	s_mov_b64 exec, s[36:37]                                   // 00000000C734: BEFE0124
	s_branch label_2E60                                        // 00000000C738: BF82070E

000000000000c73c <label_2752>:
	ds_write_b64 v20, v[72:73]                                 // 00000000C73C: D89A0000 00004814
	ds_write_b64 v20, v[76:77] offset:4352                     // 00000000C744: D89A1100 00004C14
	ds_write_b64 v20, v[80:81] offset:8704                     // 00000000C74C: D89A2200 00005014
	ds_write_b64 v20, v[84:85] offset:13056                    // 00000000C754: D89A3300 00005414
	ds_write_b64 v20, v[88:89] offset:17408                    // 00000000C75C: D89A4400 00005814
	ds_write_b64 v20, v[92:93] offset:21760                    // 00000000C764: D89A5500 00005C14
	ds_write_b64 v20, v[96:97] offset:26112                    // 00000000C76C: D89A6600 00006014
	ds_write_b64 v20, v[100:101] offset:2176                   // 00000000C774: D89A0880 00006414
	ds_write_b64 v20, v[104:105] offset:6528                   // 00000000C77C: D89A1980 00006814
	ds_write_b64 v20, v[108:109] offset:10880                  // 00000000C784: D89A2A80 00006C14
	ds_write_b64 v20, v[112:113] offset:15232                  // 00000000C78C: D89A3B80 00007014
	ds_write_b64 v20, v[116:117] offset:19584                  // 00000000C794: D89A4C80 00007414
	ds_write_b64 v20, v[120:121] offset:23936                  // 00000000C79C: D89A5D80 00007814
	ds_write_b64 v20, v[124:125] offset:28288                  // 00000000C7A4: D89A6E80 00007C14
	v_lshrrev_b32_e32 v4, 5, v0                                // 00000000C7AC: 20080085
	v_xor_b32_e32 v5, 1, v4                                    // 00000000C7B0: 2A0A0881
	s_mul_i32 s60, s65, 1                                      // 00000000C7B4: 923C8141
	s_cmp_eq_u32 s88, 0                                        // 00000000C7B8: BF068058
	s_cselect_b32 s61, 1, 8                                    // 00000000C7BC: 853D8881
	s_mul_i32 s60, s61, s60                                    // 00000000C7C0: 923C3C3D
	v_readlane_b32 s82, v3, 0                                  // 00000000C7C4: D2890052 00010103
	s_lshr_b32 s61, s82, 24                                    // 00000000C7CC: 8F3D9852
	s_and_b32 s82, s82, 0xffffff                               // 00000000C7D0: 8652FF52 00FFFFFF
	s_mul_i32 s82, s82, s71                                    // 00000000C7D8: 92524752
	s_mul_i32 s61, s60, s61                                    // 00000000C7DC: 923D3D3C
	s_add_u32 s82, s82, s61                                    // 00000000C7E0: 80523D52
	v_mul_lo_u32 v6, v5, s82                                   // 00000000C7E4: D2850006 0000A505
	v_readlane_b32 s82, v3, 1                                  // 00000000C7EC: D2890052 00010303
	s_lshr_b32 s61, s82, 24                                    // 00000000C7F4: 8F3D9852
	s_and_b32 s82, s82, 0xffffff                               // 00000000C7F8: 8652FF52 00FFFFFF
	s_mul_i32 s82, s82, s71                                    // 00000000C800: 92524752
	s_mul_i32 s61, s60, s61                                    // 00000000C804: 923D3D3C
	s_add_u32 s82, s82, s61                                    // 00000000C808: 80523D52
	v_mul_lo_u32 v7, v4, s82                                   // 00000000C80C: D2850007 0000A504
	v_add_u32_e32 v56, v6, v7                                  // 00000000C814: 68700F06
	v_readlane_b32 s82, v3, 2                                  // 00000000C818: D2890052 00010503
	s_lshr_b32 s61, s82, 24                                    // 00000000C820: 8F3D9852
	s_and_b32 s82, s82, 0xffffff                               // 00000000C824: 8652FF52 00FFFFFF
	s_mul_i32 s82, s82, s71                                    // 00000000C82C: 92524752
	s_mul_i32 s61, s60, s61                                    // 00000000C830: 923D3D3C
	s_add_u32 s82, s82, s61                                    // 00000000C834: 80523D52
	v_mul_lo_u32 v6, v5, s82                                   // 00000000C838: D2850006 0000A505
	v_readlane_b32 s82, v3, 3                                  // 00000000C840: D2890052 00010703
	s_lshr_b32 s61, s82, 24                                    // 00000000C848: 8F3D9852
	s_and_b32 s82, s82, 0xffffff                               // 00000000C84C: 8652FF52 00FFFFFF
	s_mul_i32 s82, s82, s71                                    // 00000000C854: 92524752
	s_mul_i32 s61, s60, s61                                    // 00000000C858: 923D3D3C
	s_add_u32 s82, s82, s61                                    // 00000000C85C: 80523D52
	v_mul_lo_u32 v7, v4, s82                                   // 00000000C860: D2850007 0000A504
	v_add_u32_e32 v57, v6, v7                                  // 00000000C868: 68720F06
	v_readlane_b32 s82, v3, 4                                  // 00000000C86C: D2890052 00010903
	s_lshr_b32 s61, s82, 24                                    // 00000000C874: 8F3D9852
	s_and_b32 s82, s82, 0xffffff                               // 00000000C878: 8652FF52 00FFFFFF
	s_mul_i32 s82, s82, s71                                    // 00000000C880: 92524752
	s_mul_i32 s61, s60, s61                                    // 00000000C884: 923D3D3C
	s_add_u32 s82, s82, s61                                    // 00000000C888: 80523D52
	v_mul_lo_u32 v6, v5, s82                                   // 00000000C88C: D2850006 0000A505
	v_readlane_b32 s82, v3, 5                                  // 00000000C894: D2890052 00010B03
	s_lshr_b32 s61, s82, 24                                    // 00000000C89C: 8F3D9852
	s_and_b32 s82, s82, 0xffffff                               // 00000000C8A0: 8652FF52 00FFFFFF
	s_mul_i32 s82, s82, s71                                    // 00000000C8A8: 92524752
	s_mul_i32 s61, s60, s61                                    // 00000000C8AC: 923D3D3C
	s_add_u32 s82, s82, s61                                    // 00000000C8B0: 80523D52
	v_mul_lo_u32 v7, v4, s82                                   // 00000000C8B4: D2850007 0000A504
	v_add_u32_e32 v58, v6, v7                                  // 00000000C8BC: 68740F06
	v_readlane_b32 s82, v3, 6                                  // 00000000C8C0: D2890052 00010D03
	s_lshr_b32 s61, s82, 24                                    // 00000000C8C8: 8F3D9852
	s_and_b32 s82, s82, 0xffffff                               // 00000000C8CC: 8652FF52 00FFFFFF
	s_mul_i32 s82, s82, s71                                    // 00000000C8D4: 92524752
	s_mul_i32 s61, s60, s61                                    // 00000000C8D8: 923D3D3C
	s_add_u32 s82, s82, s61                                    // 00000000C8DC: 80523D52
	v_mul_lo_u32 v6, v5, s82                                   // 00000000C8E0: D2850006 0000A505
	v_readlane_b32 s82, v3, 7                                  // 00000000C8E8: D2890052 00010F03
	s_lshr_b32 s61, s82, 24                                    // 00000000C8F0: 8F3D9852
	s_and_b32 s82, s82, 0xffffff                               // 00000000C8F4: 8652FF52 00FFFFFF
	s_mul_i32 s82, s82, s71                                    // 00000000C8FC: 92524752
	s_mul_i32 s61, s60, s61                                    // 00000000C900: 923D3D3C
	s_add_u32 s82, s82, s61                                    // 00000000C904: 80523D52
	v_mul_lo_u32 v7, v4, s82                                   // 00000000C908: D2850007 0000A504
	v_add_u32_e32 v59, v6, v7                                  // 00000000C910: 68760F06
	v_readlane_b32 s82, v3, 8                                  // 00000000C914: D2890052 00011103
	s_lshr_b32 s61, s82, 24                                    // 00000000C91C: 8F3D9852
	s_and_b32 s82, s82, 0xffffff                               // 00000000C920: 8652FF52 00FFFFFF
	s_mul_i32 s82, s82, s71                                    // 00000000C928: 92524752
	s_mul_i32 s61, s60, s61                                    // 00000000C92C: 923D3D3C
	s_add_u32 s82, s82, s61                                    // 00000000C930: 80523D52
	v_mul_lo_u32 v6, v5, s82                                   // 00000000C934: D2850006 0000A505
	v_readlane_b32 s82, v3, 9                                  // 00000000C93C: D2890052 00011303
	s_lshr_b32 s61, s82, 24                                    // 00000000C944: 8F3D9852
	s_and_b32 s82, s82, 0xffffff                               // 00000000C948: 8652FF52 00FFFFFF
	s_mul_i32 s82, s82, s71                                    // 00000000C950: 92524752
	s_mul_i32 s61, s60, s61                                    // 00000000C954: 923D3D3C
	s_add_u32 s82, s82, s61                                    // 00000000C958: 80523D52
	v_mul_lo_u32 v7, v4, s82                                   // 00000000C95C: D2850007 0000A504
	v_add_u32_e32 v60, v6, v7                                  // 00000000C964: 68780F06
	v_readlane_b32 s82, v3, 10                                 // 00000000C968: D2890052 00011503
	s_lshr_b32 s61, s82, 24                                    // 00000000C970: 8F3D9852
	s_and_b32 s82, s82, 0xffffff                               // 00000000C974: 8652FF52 00FFFFFF
	s_mul_i32 s82, s82, s71                                    // 00000000C97C: 92524752
	s_mul_i32 s61, s60, s61                                    // 00000000C980: 923D3D3C
	s_add_u32 s82, s82, s61                                    // 00000000C984: 80523D52
	v_mul_lo_u32 v6, v5, s82                                   // 00000000C988: D2850006 0000A505
	v_readlane_b32 s82, v3, 11                                 // 00000000C990: D2890052 00011703
	s_lshr_b32 s61, s82, 24                                    // 00000000C998: 8F3D9852
	s_and_b32 s82, s82, 0xffffff                               // 00000000C99C: 8652FF52 00FFFFFF
	s_mul_i32 s82, s82, s71                                    // 00000000C9A4: 92524752
	s_mul_i32 s61, s60, s61                                    // 00000000C9A8: 923D3D3C
	s_add_u32 s82, s82, s61                                    // 00000000C9AC: 80523D52
	v_mul_lo_u32 v7, v4, s82                                   // 00000000C9B0: D2850007 0000A504
	v_add_u32_e32 v61, v6, v7                                  // 00000000C9B8: 687A0F06
	v_readlane_b32 s82, v3, 12                                 // 00000000C9BC: D2890052 00011903
	s_lshr_b32 s61, s82, 24                                    // 00000000C9C4: 8F3D9852
	s_and_b32 s82, s82, 0xffffff                               // 00000000C9C8: 8652FF52 00FFFFFF
	s_mul_i32 s82, s82, s71                                    // 00000000C9D0: 92524752
	s_mul_i32 s61, s60, s61                                    // 00000000C9D4: 923D3D3C
	s_add_u32 s82, s82, s61                                    // 00000000C9D8: 80523D52
	v_mul_lo_u32 v6, v5, s82                                   // 00000000C9DC: D2850006 0000A505
	v_readlane_b32 s82, v3, 13                                 // 00000000C9E4: D2890052 00011B03
	s_lshr_b32 s61, s82, 24                                    // 00000000C9EC: 8F3D9852
	s_and_b32 s82, s82, 0xffffff                               // 00000000C9F0: 8652FF52 00FFFFFF
	s_mul_i32 s82, s82, s71                                    // 00000000C9F8: 92524752
	s_mul_i32 s61, s60, s61                                    // 00000000C9FC: 923D3D3C
	s_add_u32 s82, s82, s61                                    // 00000000CA00: 80523D52
	v_mul_lo_u32 v7, v4, s82                                   // 00000000CA04: D2850007 0000A504
	v_add_u32_e32 v62, v6, v7                                  // 00000000CA0C: 687C0F06
	v_readlane_b32 s82, v3, 14                                 // 00000000CA10: D2890052 00011D03
	s_lshr_b32 s61, s82, 24                                    // 00000000CA18: 8F3D9852
	s_and_b32 s82, s82, 0xffffff                               // 00000000CA1C: 8652FF52 00FFFFFF
	s_mul_i32 s82, s82, s71                                    // 00000000CA24: 92524752
	s_mul_i32 s61, s60, s61                                    // 00000000CA28: 923D3D3C
	s_add_u32 s82, s82, s61                                    // 00000000CA2C: 80523D52
	v_mul_lo_u32 v6, v5, s82                                   // 00000000CA30: D2850006 0000A505
	v_readlane_b32 s82, v3, 15                                 // 00000000CA38: D2890052 00011F03
	s_lshr_b32 s61, s82, 24                                    // 00000000CA40: 8F3D9852
	s_and_b32 s82, s82, 0xffffff                               // 00000000CA44: 8652FF52 00FFFFFF
	s_mul_i32 s82, s82, s71                                    // 00000000CA4C: 92524752
	s_mul_i32 s61, s60, s61                                    // 00000000CA50: 923D3D3C
	s_add_u32 s82, s82, s61                                    // 00000000CA54: 80523D52
	v_mul_lo_u32 v7, v4, s82                                   // 00000000CA58: D2850007 0000A504
	v_add_u32_e32 v63, v6, v7                                  // 00000000CA60: 687E0F06
	v_readlane_b32 s82, v3, 16                                 // 00000000CA64: D2890052 00012103
	s_lshr_b32 s61, s82, 24                                    // 00000000CA6C: 8F3D9852
	s_and_b32 s82, s82, 0xffffff                               // 00000000CA70: 8652FF52 00FFFFFF
	s_mul_i32 s82, s82, s71                                    // 00000000CA78: 92524752
	s_mul_i32 s61, s60, s61                                    // 00000000CA7C: 923D3D3C
	s_add_u32 s82, s82, s61                                    // 00000000CA80: 80523D52
	v_mul_lo_u32 v6, v5, s82                                   // 00000000CA84: D2850006 0000A505
	v_readlane_b32 s82, v3, 17                                 // 00000000CA8C: D2890052 00012303
	s_lshr_b32 s61, s82, 24                                    // 00000000CA94: 8F3D9852
	s_and_b32 s82, s82, 0xffffff                               // 00000000CA98: 8652FF52 00FFFFFF
	s_mul_i32 s82, s82, s71                                    // 00000000CAA0: 92524752
	s_mul_i32 s61, s60, s61                                    // 00000000CAA4: 923D3D3C
	s_add_u32 s82, s82, s61                                    // 00000000CAA8: 80523D52
	v_mul_lo_u32 v7, v4, s82                                   // 00000000CAAC: D2850007 0000A504
	v_add_u32_e32 v64, v6, v7                                  // 00000000CAB4: 68800F06
	v_readlane_b32 s82, v3, 18                                 // 00000000CAB8: D2890052 00012503
	s_lshr_b32 s61, s82, 24                                    // 00000000CAC0: 8F3D9852
	s_and_b32 s82, s82, 0xffffff                               // 00000000CAC4: 8652FF52 00FFFFFF
	s_mul_i32 s82, s82, s71                                    // 00000000CACC: 92524752
	s_mul_i32 s61, s60, s61                                    // 00000000CAD0: 923D3D3C
	s_add_u32 s82, s82, s61                                    // 00000000CAD4: 80523D52
	v_mul_lo_u32 v6, v5, s82                                   // 00000000CAD8: D2850006 0000A505
	v_readlane_b32 s82, v3, 19                                 // 00000000CAE0: D2890052 00012703
	s_lshr_b32 s61, s82, 24                                    // 00000000CAE8: 8F3D9852
	s_and_b32 s82, s82, 0xffffff                               // 00000000CAEC: 8652FF52 00FFFFFF
	s_mul_i32 s82, s82, s71                                    // 00000000CAF4: 92524752
	s_mul_i32 s61, s60, s61                                    // 00000000CAF8: 923D3D3C
	s_add_u32 s82, s82, s61                                    // 00000000CAFC: 80523D52
	v_mul_lo_u32 v7, v4, s82                                   // 00000000CB00: D2850007 0000A504
	v_add_u32_e32 v65, v6, v7                                  // 00000000CB08: 68820F06
	v_readlane_b32 s82, v3, 20                                 // 00000000CB0C: D2890052 00012903
	s_lshr_b32 s61, s82, 24                                    // 00000000CB14: 8F3D9852
	s_and_b32 s82, s82, 0xffffff                               // 00000000CB18: 8652FF52 00FFFFFF
	s_mul_i32 s82, s82, s71                                    // 00000000CB20: 92524752
	s_mul_i32 s61, s60, s61                                    // 00000000CB24: 923D3D3C
	s_add_u32 s82, s82, s61                                    // 00000000CB28: 80523D52
	v_mul_lo_u32 v6, v5, s82                                   // 00000000CB2C: D2850006 0000A505
	v_readlane_b32 s82, v3, 21                                 // 00000000CB34: D2890052 00012B03
	s_lshr_b32 s61, s82, 24                                    // 00000000CB3C: 8F3D9852
	s_and_b32 s82, s82, 0xffffff                               // 00000000CB40: 8652FF52 00FFFFFF
	s_mul_i32 s82, s82, s71                                    // 00000000CB48: 92524752
	s_mul_i32 s61, s60, s61                                    // 00000000CB4C: 923D3D3C
	s_add_u32 s82, s82, s61                                    // 00000000CB50: 80523D52
	v_mul_lo_u32 v7, v4, s82                                   // 00000000CB54: D2850007 0000A504
	v_add_u32_e32 v66, v6, v7                                  // 00000000CB5C: 68840F06
	v_readlane_b32 s82, v3, 22                                 // 00000000CB60: D2890052 00012D03
	s_lshr_b32 s61, s82, 24                                    // 00000000CB68: 8F3D9852
	s_and_b32 s82, s82, 0xffffff                               // 00000000CB6C: 8652FF52 00FFFFFF
	s_mul_i32 s82, s82, s71                                    // 00000000CB74: 92524752
	s_mul_i32 s61, s60, s61                                    // 00000000CB78: 923D3D3C
	s_add_u32 s82, s82, s61                                    // 00000000CB7C: 80523D52
	v_mul_lo_u32 v6, v5, s82                                   // 00000000CB80: D2850006 0000A505
	v_readlane_b32 s82, v3, 23                                 // 00000000CB88: D2890052 00012F03
	s_lshr_b32 s61, s82, 24                                    // 00000000CB90: 8F3D9852
	s_and_b32 s82, s82, 0xffffff                               // 00000000CB94: 8652FF52 00FFFFFF
	s_mul_i32 s82, s82, s71                                    // 00000000CB9C: 92524752
	s_mul_i32 s61, s60, s61                                    // 00000000CBA0: 923D3D3C
	s_add_u32 s82, s82, s61                                    // 00000000CBA4: 80523D52
	v_mul_lo_u32 v7, v4, s82                                   // 00000000CBA8: D2850007 0000A504
	v_add_u32_e32 v67, v6, v7                                  // 00000000CBB0: 68860F06
	v_readlane_b32 s82, v3, 24                                 // 00000000CBB4: D2890052 00013103
	s_lshr_b32 s61, s82, 24                                    // 00000000CBBC: 8F3D9852
	s_and_b32 s82, s82, 0xffffff                               // 00000000CBC0: 8652FF52 00FFFFFF
	s_mul_i32 s82, s82, s71                                    // 00000000CBC8: 92524752
	s_mul_i32 s61, s60, s61                                    // 00000000CBCC: 923D3D3C
	s_add_u32 s82, s82, s61                                    // 00000000CBD0: 80523D52
	v_mul_lo_u32 v6, v5, s82                                   // 00000000CBD4: D2850006 0000A505
	v_readlane_b32 s82, v3, 25                                 // 00000000CBDC: D2890052 00013303
	s_lshr_b32 s61, s82, 24                                    // 00000000CBE4: 8F3D9852
	s_and_b32 s82, s82, 0xffffff                               // 00000000CBE8: 8652FF52 00FFFFFF
	s_mul_i32 s82, s82, s71                                    // 00000000CBF0: 92524752
	s_mul_i32 s61, s60, s61                                    // 00000000CBF4: 923D3D3C
	s_add_u32 s82, s82, s61                                    // 00000000CBF8: 80523D52
	v_mul_lo_u32 v7, v4, s82                                   // 00000000CBFC: D2850007 0000A504
	v_add_u32_e32 v68, v6, v7                                  // 00000000CC04: 68880F06
	v_readlane_b32 s82, v3, 26                                 // 00000000CC08: D2890052 00013503
	s_lshr_b32 s61, s82, 24                                    // 00000000CC10: 8F3D9852
	s_and_b32 s82, s82, 0xffffff                               // 00000000CC14: 8652FF52 00FFFFFF
	s_mul_i32 s82, s82, s71                                    // 00000000CC1C: 92524752
	s_mul_i32 s61, s60, s61                                    // 00000000CC20: 923D3D3C
	s_add_u32 s82, s82, s61                                    // 00000000CC24: 80523D52
	v_mul_lo_u32 v6, v5, s82                                   // 00000000CC28: D2850006 0000A505
	v_readlane_b32 s82, v3, 27                                 // 00000000CC30: D2890052 00013703
	s_lshr_b32 s61, s82, 24                                    // 00000000CC38: 8F3D9852
	s_and_b32 s82, s82, 0xffffff                               // 00000000CC3C: 8652FF52 00FFFFFF
	s_mul_i32 s82, s82, s71                                    // 00000000CC44: 92524752
	s_mul_i32 s61, s60, s61                                    // 00000000CC48: 923D3D3C
	s_add_u32 s82, s82, s61                                    // 00000000CC4C: 80523D52
	v_mul_lo_u32 v7, v4, s82                                   // 00000000CC50: D2850007 0000A504
	v_add_u32_e32 v69, v6, v7                                  // 00000000CC58: 688A0F06
	v_and_b32_e32 v4, 31, v0                                   // 00000000CC5C: 2608009F
	v_lshrrev_b32_e32 v4, 1, v4                                // 00000000CC60: 20080881
	s_cmp_eq_u32 s88, 0                                        // 00000000CC64: BF068058
	s_cselect_b32 s61, 2, 4                                    // 00000000CC68: 853D8482
	v_mul_lo_u32 v4, v4, s61                                   // 00000000CC6C: D2850004 00007B04
	v_and_b32_e64 v5, v0, 1                                    // 00000000CC74: D1130005 00010300
	v_add_u32_e32 v4, v4, v5                                   // 00000000CC7C: 68080B04
	v_lshlrev_b32_e32 v4, 2, v4                                // 00000000CC80: 24080882
	v_add_u32_e32 v56, v56, v4                                 // 00000000CC84: 68700938
	v_add_u32_e32 v57, v57, v4                                 // 00000000CC88: 68720939
	v_add_u32_e32 v58, v58, v4                                 // 00000000CC8C: 6874093A
	v_add_u32_e32 v59, v59, v4                                 // 00000000CC90: 6876093B
	v_add_u32_e32 v60, v60, v4                                 // 00000000CC94: 6878093C
	v_add_u32_e32 v61, v61, v4                                 // 00000000CC98: 687A093D
	v_add_u32_e32 v62, v62, v4                                 // 00000000CC9C: 687C093E
	v_add_u32_e32 v63, v63, v4                                 // 00000000CCA0: 687E093F
	v_add_u32_e32 v64, v64, v4                                 // 00000000CCA4: 68800940
	v_add_u32_e32 v65, v65, v4                                 // 00000000CCA8: 68820941
	v_add_u32_e32 v66, v66, v4                                 // 00000000CCAC: 68840942
	v_add_u32_e32 v67, v67, v4                                 // 00000000CCB0: 68860943
	v_add_u32_e32 v68, v68, v4                                 // 00000000CCB4: 68880944
	v_add_u32_e32 v69, v69, v4                                 // 00000000CCB8: 688A0945
	s_waitcnt lgkmcnt(0)                                       // 00000000CCBC: BF8CC07F
	s_barrier                                                  // 00000000CCC0: BF8A0000
	ds_read_b32 v72, v21                                       // 00000000CCC4: D86C0000 48000015
	ds_read_b32 v73, v21 offset:64                             // 00000000CCCC: D86C0040 49000015
	ds_read_b32 v76, v21 offset:2176                           // 00000000CCD4: D86C0880 4C000015
	ds_read_b32 v77, v21 offset:2240                           // 00000000CCDC: D86C08C0 4D000015
	ds_read_b32 v80, v21 offset:4352                           // 00000000CCE4: D86C1100 50000015
	ds_read_b32 v81, v21 offset:4416                           // 00000000CCEC: D86C1140 51000015
	ds_read_b32 v84, v21 offset:6528                           // 00000000CCF4: D86C1980 54000015
	ds_read_b32 v85, v21 offset:6592                           // 00000000CCFC: D86C19C0 55000015
	ds_read_b32 v88, v21 offset:8704                           // 00000000CD04: D86C2200 58000015
	ds_read_b32 v89, v21 offset:8768                           // 00000000CD0C: D86C2240 59000015
	ds_read_b32 v92, v21 offset:10880                          // 00000000CD14: D86C2A80 5C000015
	ds_read_b32 v93, v21 offset:10944                          // 00000000CD1C: D86C2AC0 5D000015
	ds_read_b32 v96, v21 offset:13056                          // 00000000CD24: D86C3300 60000015
	ds_read_b32 v97, v21 offset:13120                          // 00000000CD2C: D86C3340 61000015
	ds_read_b32 v100, v21 offset:15232                         // 00000000CD34: D86C3B80 64000015
	ds_read_b32 v101, v21 offset:15296                         // 00000000CD3C: D86C3BC0 65000015
	ds_read_b32 v104, v21 offset:17408                         // 00000000CD44: D86C4400 68000015
	ds_read_b32 v105, v21 offset:17472                         // 00000000CD4C: D86C4440 69000015
	ds_read_b32 v108, v21 offset:19584                         // 00000000CD54: D86C4C80 6C000015
	ds_read_b32 v109, v21 offset:19648                         // 00000000CD5C: D86C4CC0 6D000015
	ds_read_b32 v112, v21 offset:21760                         // 00000000CD64: D86C5500 70000015
	ds_read_b32 v113, v21 offset:21824                         // 00000000CD6C: D86C5540 71000015
	ds_read_b32 v116, v21 offset:23936                         // 00000000CD74: D86C5D80 74000015
	ds_read_b32 v117, v21 offset:24000                         // 00000000CD7C: D86C5DC0 75000015
	ds_read_b32 v120, v21 offset:26112                         // 00000000CD84: D86C6600 78000015
	ds_read_b32 v121, v21 offset:26176                         // 00000000CD8C: D86C6640 79000015
	ds_read_b32 v124, v21 offset:28288                         // 00000000CD94: D86C6E80 7C000015
	ds_read_b32 v125, v21 offset:28352                         // 00000000CD9C: D86C6EC0 7D000015
	s_waitcnt lgkmcnt(0)                                       // 00000000CDA4: BF8CC07F
	s_mov_b32 s36, -1                                          // 00000000CDA8: BEA400C1
	s_mov_b32 s37, -1                                          // 00000000CDAC: BEA500C1
	v_mov_b32_e32 v7, 0                                        // 00000000CDB0: 7E0E0280
	s_mov_b64 exec, s[36:37]                                   // 00000000CDB4: BEFE0124
	v_mov_b32_e32 v6, v56                                      // 00000000CDB8: 7E0C0338
	s_mov_b64 s[60:61], 0                                      // 00000000CDBC: BEBC0180
	v_readlane_b32 s82, v3, 0                                  // 00000000CDC0: D2890052 00010103
	s_and_b32 s82, s82, 0xffffff                               // 00000000CDC8: 8652FF52 00FFFFFF
	s_cmp_lt_u32 s82, s66                                      // 00000000CDD0: BF0A4252
	s_cselect_b32 s20, s36, s60                                // 00000000CDD4: 85143C24
	v_readlane_b32 s82, v3, 1                                  // 00000000CDD8: D2890052 00010303
	s_and_b32 s82, s82, 0xffffff                               // 00000000CDE0: 8652FF52 00FFFFFF
	s_cmp_lt_u32 s82, s66                                      // 00000000CDE8: BF0A4252
	s_cselect_b32 s21, s36, s60                                // 00000000CDEC: 85153C24
	s_mov_b64 exec, s[20:21]                                   // 00000000CDF0: BEFE0114
	global_atomic_add_f32 v6, v72, s[8:9]                      // 00000000CDF4: DD348000 00084806
	global_atomic_add_f32 v6, v76, s[8:9] offset:256           // 00000000CDFC: DD348100 00084C06
	s_mov_b64 exec, s[36:37]                                   // 00000000CE04: BEFE0124
	v_mov_b32_e32 v6, v57                                      // 00000000CE08: 7E0C0339
	s_mov_b64 s[60:61], 0                                      // 00000000CE0C: BEBC0180
	v_readlane_b32 s82, v3, 2                                  // 00000000CE10: D2890052 00010503
	s_and_b32 s82, s82, 0xffffff                               // 00000000CE18: 8652FF52 00FFFFFF
	s_cmp_lt_u32 s82, s66                                      // 00000000CE20: BF0A4252
	s_cselect_b32 s20, s36, s60                                // 00000000CE24: 85143C24
	v_readlane_b32 s82, v3, 3                                  // 00000000CE28: D2890052 00010703
	s_and_b32 s82, s82, 0xffffff                               // 00000000CE30: 8652FF52 00FFFFFF
	s_cmp_lt_u32 s82, s66                                      // 00000000CE38: BF0A4252
	s_cselect_b32 s21, s36, s60                                // 00000000CE3C: 85153C24
	s_mov_b64 exec, s[20:21]                                   // 00000000CE40: BEFE0114
	global_atomic_add_f32 v6, v73, s[8:9]                      // 00000000CE44: DD348000 00084906
	global_atomic_add_f32 v6, v77, s[8:9] offset:256           // 00000000CE4C: DD348100 00084D06
	s_mov_b64 exec, s[36:37]                                   // 00000000CE54: BEFE0124
	v_mov_b32_e32 v6, v58                                      // 00000000CE58: 7E0C033A
	s_mov_b64 s[60:61], 0                                      // 00000000CE5C: BEBC0180
	v_readlane_b32 s82, v3, 4                                  // 00000000CE60: D2890052 00010903
	s_and_b32 s82, s82, 0xffffff                               // 00000000CE68: 8652FF52 00FFFFFF
	s_cmp_lt_u32 s82, s66                                      // 00000000CE70: BF0A4252
	s_cselect_b32 s20, s36, s60                                // 00000000CE74: 85143C24
	v_readlane_b32 s82, v3, 5                                  // 00000000CE78: D2890052 00010B03
	s_and_b32 s82, s82, 0xffffff                               // 00000000CE80: 8652FF52 00FFFFFF
	s_cmp_lt_u32 s82, s66                                      // 00000000CE88: BF0A4252
	s_cselect_b32 s21, s36, s60                                // 00000000CE8C: 85153C24
	s_mov_b64 exec, s[20:21]                                   // 00000000CE90: BEFE0114
	global_atomic_add_f32 v6, v80, s[8:9]                      // 00000000CE94: DD348000 00085006
	global_atomic_add_f32 v6, v84, s[8:9] offset:256           // 00000000CE9C: DD348100 00085406
	s_mov_b64 exec, s[36:37]                                   // 00000000CEA4: BEFE0124
	v_mov_b32_e32 v6, v59                                      // 00000000CEA8: 7E0C033B
	s_mov_b64 s[60:61], 0                                      // 00000000CEAC: BEBC0180
	v_readlane_b32 s82, v3, 6                                  // 00000000CEB0: D2890052 00010D03
	s_and_b32 s82, s82, 0xffffff                               // 00000000CEB8: 8652FF52 00FFFFFF
	s_cmp_lt_u32 s82, s66                                      // 00000000CEC0: BF0A4252
	s_cselect_b32 s20, s36, s60                                // 00000000CEC4: 85143C24
	v_readlane_b32 s82, v3, 7                                  // 00000000CEC8: D2890052 00010F03
	s_and_b32 s82, s82, 0xffffff                               // 00000000CED0: 8652FF52 00FFFFFF
	s_cmp_lt_u32 s82, s66                                      // 00000000CED8: BF0A4252
	s_cselect_b32 s21, s36, s60                                // 00000000CEDC: 85153C24
	s_mov_b64 exec, s[20:21]                                   // 00000000CEE0: BEFE0114
	global_atomic_add_f32 v6, v81, s[8:9]                      // 00000000CEE4: DD348000 00085106
	global_atomic_add_f32 v6, v85, s[8:9] offset:256           // 00000000CEEC: DD348100 00085506
	s_mov_b64 exec, s[36:37]                                   // 00000000CEF4: BEFE0124
	v_mov_b32_e32 v6, v60                                      // 00000000CEF8: 7E0C033C
	s_mov_b64 s[60:61], 0                                      // 00000000CEFC: BEBC0180
	v_readlane_b32 s82, v3, 8                                  // 00000000CF00: D2890052 00011103
	s_and_b32 s82, s82, 0xffffff                               // 00000000CF08: 8652FF52 00FFFFFF
	s_cmp_lt_u32 s82, s66                                      // 00000000CF10: BF0A4252
	s_cselect_b32 s20, s36, s60                                // 00000000CF14: 85143C24
	v_readlane_b32 s82, v3, 9                                  // 00000000CF18: D2890052 00011303
	s_and_b32 s82, s82, 0xffffff                               // 00000000CF20: 8652FF52 00FFFFFF
	s_cmp_lt_u32 s82, s66                                      // 00000000CF28: BF0A4252
	s_cselect_b32 s21, s36, s60                                // 00000000CF2C: 85153C24
	s_mov_b64 exec, s[20:21]                                   // 00000000CF30: BEFE0114
	global_atomic_add_f32 v6, v88, s[8:9]                      // 00000000CF34: DD348000 00085806
	global_atomic_add_f32 v6, v92, s[8:9] offset:256           // 00000000CF3C: DD348100 00085C06
	s_mov_b64 exec, s[36:37]                                   // 00000000CF44: BEFE0124
	v_mov_b32_e32 v6, v61                                      // 00000000CF48: 7E0C033D
	s_mov_b64 s[60:61], 0                                      // 00000000CF4C: BEBC0180
	v_readlane_b32 s82, v3, 10                                 // 00000000CF50: D2890052 00011503
	s_and_b32 s82, s82, 0xffffff                               // 00000000CF58: 8652FF52 00FFFFFF
	s_cmp_lt_u32 s82, s66                                      // 00000000CF60: BF0A4252
	s_cselect_b32 s20, s36, s60                                // 00000000CF64: 85143C24
	v_readlane_b32 s82, v3, 11                                 // 00000000CF68: D2890052 00011703
	s_and_b32 s82, s82, 0xffffff                               // 00000000CF70: 8652FF52 00FFFFFF
	s_cmp_lt_u32 s82, s66                                      // 00000000CF78: BF0A4252
	s_cselect_b32 s21, s36, s60                                // 00000000CF7C: 85153C24
	s_mov_b64 exec, s[20:21]                                   // 00000000CF80: BEFE0114
	global_atomic_add_f32 v6, v89, s[8:9]                      // 00000000CF84: DD348000 00085906
	global_atomic_add_f32 v6, v93, s[8:9] offset:256           // 00000000CF8C: DD348100 00085D06
	s_mov_b64 exec, s[36:37]                                   // 00000000CF94: BEFE0124
	v_mov_b32_e32 v6, v62                                      // 00000000CF98: 7E0C033E
	s_mov_b64 s[60:61], 0                                      // 00000000CF9C: BEBC0180
	v_readlane_b32 s82, v3, 12                                 // 00000000CFA0: D2890052 00011903
	s_and_b32 s82, s82, 0xffffff                               // 00000000CFA8: 8652FF52 00FFFFFF
	s_cmp_lt_u32 s82, s66                                      // 00000000CFB0: BF0A4252
	s_cselect_b32 s20, s36, s60                                // 00000000CFB4: 85143C24
	v_readlane_b32 s82, v3, 13                                 // 00000000CFB8: D2890052 00011B03
	s_and_b32 s82, s82, 0xffffff                               // 00000000CFC0: 8652FF52 00FFFFFF
	s_cmp_lt_u32 s82, s66                                      // 00000000CFC8: BF0A4252
	s_cselect_b32 s21, s36, s60                                // 00000000CFCC: 85153C24
	s_mov_b64 exec, s[20:21]                                   // 00000000CFD0: BEFE0114
	global_atomic_add_f32 v6, v96, s[8:9]                      // 00000000CFD4: DD348000 00086006
	global_atomic_add_f32 v6, v100, s[8:9] offset:256          // 00000000CFDC: DD348100 00086406
	s_mov_b64 exec, s[36:37]                                   // 00000000CFE4: BEFE0124
	v_mov_b32_e32 v6, v63                                      // 00000000CFE8: 7E0C033F
	s_mov_b64 s[60:61], 0                                      // 00000000CFEC: BEBC0180
	v_readlane_b32 s82, v3, 14                                 // 00000000CFF0: D2890052 00011D03
	s_and_b32 s82, s82, 0xffffff                               // 00000000CFF8: 8652FF52 00FFFFFF
	s_cmp_lt_u32 s82, s66                                      // 00000000D000: BF0A4252
	s_cselect_b32 s20, s36, s60                                // 00000000D004: 85143C24
	v_readlane_b32 s82, v3, 15                                 // 00000000D008: D2890052 00011F03
	s_and_b32 s82, s82, 0xffffff                               // 00000000D010: 8652FF52 00FFFFFF
	s_cmp_lt_u32 s82, s66                                      // 00000000D018: BF0A4252
	s_cselect_b32 s21, s36, s60                                // 00000000D01C: 85153C24
	s_mov_b64 exec, s[20:21]                                   // 00000000D020: BEFE0114
	global_atomic_add_f32 v6, v97, s[8:9]                      // 00000000D024: DD348000 00086106
	global_atomic_add_f32 v6, v101, s[8:9] offset:256          // 00000000D02C: DD348100 00086506
	s_mov_b64 exec, s[36:37]                                   // 00000000D034: BEFE0124
	v_mov_b32_e32 v6, v64                                      // 00000000D038: 7E0C0340
	s_mov_b64 s[60:61], 0                                      // 00000000D03C: BEBC0180
	v_readlane_b32 s82, v3, 16                                 // 00000000D040: D2890052 00012103
	s_and_b32 s82, s82, 0xffffff                               // 00000000D048: 8652FF52 00FFFFFF
	s_cmp_lt_u32 s82, s66                                      // 00000000D050: BF0A4252
	s_cselect_b32 s20, s36, s60                                // 00000000D054: 85143C24
	v_readlane_b32 s82, v3, 17                                 // 00000000D058: D2890052 00012303
	s_and_b32 s82, s82, 0xffffff                               // 00000000D060: 8652FF52 00FFFFFF
	s_cmp_lt_u32 s82, s66                                      // 00000000D068: BF0A4252
	s_cselect_b32 s21, s36, s60                                // 00000000D06C: 85153C24
	s_mov_b64 exec, s[20:21]                                   // 00000000D070: BEFE0114
	global_atomic_add_f32 v6, v104, s[8:9]                     // 00000000D074: DD348000 00086806
	global_atomic_add_f32 v6, v108, s[8:9] offset:256          // 00000000D07C: DD348100 00086C06
	s_mov_b64 exec, s[36:37]                                   // 00000000D084: BEFE0124
	v_mov_b32_e32 v6, v65                                      // 00000000D088: 7E0C0341
	s_mov_b64 s[60:61], 0                                      // 00000000D08C: BEBC0180
	v_readlane_b32 s82, v3, 18                                 // 00000000D090: D2890052 00012503
	s_and_b32 s82, s82, 0xffffff                               // 00000000D098: 8652FF52 00FFFFFF
	s_cmp_lt_u32 s82, s66                                      // 00000000D0A0: BF0A4252
	s_cselect_b32 s20, s36, s60                                // 00000000D0A4: 85143C24
	v_readlane_b32 s82, v3, 19                                 // 00000000D0A8: D2890052 00012703
	s_and_b32 s82, s82, 0xffffff                               // 00000000D0B0: 8652FF52 00FFFFFF
	s_cmp_lt_u32 s82, s66                                      // 00000000D0B8: BF0A4252
	s_cselect_b32 s21, s36, s60                                // 00000000D0BC: 85153C24
	s_mov_b64 exec, s[20:21]                                   // 00000000D0C0: BEFE0114
	global_atomic_add_f32 v6, v105, s[8:9]                     // 00000000D0C4: DD348000 00086906
	global_atomic_add_f32 v6, v109, s[8:9] offset:256          // 00000000D0CC: DD348100 00086D06
	s_mov_b64 exec, s[36:37]                                   // 00000000D0D4: BEFE0124
	v_mov_b32_e32 v6, v66                                      // 00000000D0D8: 7E0C0342
	s_mov_b64 s[60:61], 0                                      // 00000000D0DC: BEBC0180
	v_readlane_b32 s82, v3, 20                                 // 00000000D0E0: D2890052 00012903
	s_and_b32 s82, s82, 0xffffff                               // 00000000D0E8: 8652FF52 00FFFFFF
	s_cmp_lt_u32 s82, s66                                      // 00000000D0F0: BF0A4252
	s_cselect_b32 s20, s36, s60                                // 00000000D0F4: 85143C24
	v_readlane_b32 s82, v3, 21                                 // 00000000D0F8: D2890052 00012B03
	s_and_b32 s82, s82, 0xffffff                               // 00000000D100: 8652FF52 00FFFFFF
	s_cmp_lt_u32 s82, s66                                      // 00000000D108: BF0A4252
	s_cselect_b32 s21, s36, s60                                // 00000000D10C: 85153C24
	s_mov_b64 exec, s[20:21]                                   // 00000000D110: BEFE0114
	global_atomic_add_f32 v6, v112, s[8:9]                     // 00000000D114: DD348000 00087006
	global_atomic_add_f32 v6, v116, s[8:9] offset:256          // 00000000D11C: DD348100 00087406
	s_mov_b64 exec, s[36:37]                                   // 00000000D124: BEFE0124
	v_mov_b32_e32 v6, v67                                      // 00000000D128: 7E0C0343
	s_mov_b64 s[60:61], 0                                      // 00000000D12C: BEBC0180
	v_readlane_b32 s82, v3, 22                                 // 00000000D130: D2890052 00012D03
	s_and_b32 s82, s82, 0xffffff                               // 00000000D138: 8652FF52 00FFFFFF
	s_cmp_lt_u32 s82, s66                                      // 00000000D140: BF0A4252
	s_cselect_b32 s20, s36, s60                                // 00000000D144: 85143C24
	v_readlane_b32 s82, v3, 23                                 // 00000000D148: D2890052 00012F03
	s_and_b32 s82, s82, 0xffffff                               // 00000000D150: 8652FF52 00FFFFFF
	s_cmp_lt_u32 s82, s66                                      // 00000000D158: BF0A4252
	s_cselect_b32 s21, s36, s60                                // 00000000D15C: 85153C24
	s_mov_b64 exec, s[20:21]                                   // 00000000D160: BEFE0114
	global_atomic_add_f32 v6, v113, s[8:9]                     // 00000000D164: DD348000 00087106
	global_atomic_add_f32 v6, v117, s[8:9] offset:256          // 00000000D16C: DD348100 00087506
	s_mov_b64 exec, s[36:37]                                   // 00000000D174: BEFE0124
	v_mov_b32_e32 v6, v68                                      // 00000000D178: 7E0C0344
	s_mov_b64 s[60:61], 0                                      // 00000000D17C: BEBC0180
	v_readlane_b32 s82, v3, 24                                 // 00000000D180: D2890052 00013103
	s_and_b32 s82, s82, 0xffffff                               // 00000000D188: 8652FF52 00FFFFFF
	s_cmp_lt_u32 s82, s66                                      // 00000000D190: BF0A4252
	s_cselect_b32 s20, s36, s60                                // 00000000D194: 85143C24
	v_readlane_b32 s82, v3, 25                                 // 00000000D198: D2890052 00013303
	s_and_b32 s82, s82, 0xffffff                               // 00000000D1A0: 8652FF52 00FFFFFF
	s_cmp_lt_u32 s82, s66                                      // 00000000D1A8: BF0A4252
	s_cselect_b32 s21, s36, s60                                // 00000000D1AC: 85153C24
	s_mov_b64 exec, s[20:21]                                   // 00000000D1B0: BEFE0114
	global_atomic_add_f32 v6, v120, s[8:9]                     // 00000000D1B4: DD348000 00087806
	global_atomic_add_f32 v6, v124, s[8:9] offset:256          // 00000000D1BC: DD348100 00087C06
	s_mov_b64 exec, s[36:37]                                   // 00000000D1C4: BEFE0124
	v_mov_b32_e32 v6, v69                                      // 00000000D1C8: 7E0C0345
	s_mov_b64 s[60:61], 0                                      // 00000000D1CC: BEBC0180
	v_readlane_b32 s82, v3, 26                                 // 00000000D1D0: D2890052 00013503
	s_and_b32 s82, s82, 0xffffff                               // 00000000D1D8: 8652FF52 00FFFFFF
	s_cmp_lt_u32 s82, s66                                      // 00000000D1E0: BF0A4252
	s_cselect_b32 s20, s36, s60                                // 00000000D1E4: 85143C24
	v_readlane_b32 s82, v3, 27                                 // 00000000D1E8: D2890052 00013703
	s_and_b32 s82, s82, 0xffffff                               // 00000000D1F0: 8652FF52 00FFFFFF
	s_cmp_lt_u32 s82, s66                                      // 00000000D1F8: BF0A4252
	s_cselect_b32 s21, s36, s60                                // 00000000D1FC: 85153C24
	s_mov_b64 exec, s[20:21]                                   // 00000000D200: BEFE0114
	global_atomic_add_f32 v6, v121, s[8:9]                     // 00000000D204: DD348000 00087906
	global_atomic_add_f32 v6, v125, s[8:9] offset:256          // 00000000D20C: DD348100 00087D06
	s_mov_b64 exec, s[36:37]                                   // 00000000D214: BEFE0124
	ds_write_b64 v20, v[74:75]                                 // 00000000D218: D89A0000 00004A14
	ds_write_b64 v20, v[78:79] offset:4352                     // 00000000D220: D89A1100 00004E14
	ds_write_b64 v20, v[82:83] offset:8704                     // 00000000D228: D89A2200 00005214
	ds_write_b64 v20, v[86:87] offset:13056                    // 00000000D230: D89A3300 00005614
	ds_write_b64 v20, v[90:91] offset:17408                    // 00000000D238: D89A4400 00005A14
	ds_write_b64 v20, v[94:95] offset:21760                    // 00000000D240: D89A5500 00005E14
	ds_write_b64 v20, v[98:99] offset:26112                    // 00000000D248: D89A6600 00006214
	ds_write_b64 v20, v[102:103] offset:2176                   // 00000000D250: D89A0880 00006614
	ds_write_b64 v20, v[106:107] offset:6528                   // 00000000D258: D89A1980 00006A14
	ds_write_b64 v20, v[110:111] offset:10880                  // 00000000D260: D89A2A80 00006E14
	ds_write_b64 v20, v[114:115] offset:15232                  // 00000000D268: D89A3B80 00007214
	ds_write_b64 v20, v[118:119] offset:19584                  // 00000000D270: D89A4C80 00007614
	ds_write_b64 v20, v[122:123] offset:23936                  // 00000000D278: D89A5D80 00007A14
	ds_write_b64 v20, v[126:127] offset:28288                  // 00000000D280: D89A6E80 00007E14
	s_waitcnt lgkmcnt(0)                                       // 00000000D288: BF8CC07F
	s_barrier                                                  // 00000000D28C: BF8A0000
	ds_read_b32 v74, v21                                       // 00000000D290: D86C0000 4A000015
	ds_read_b32 v75, v21 offset:64                             // 00000000D298: D86C0040 4B000015
	ds_read_b32 v78, v21 offset:2176                           // 00000000D2A0: D86C0880 4E000015
	ds_read_b32 v79, v21 offset:2240                           // 00000000D2A8: D86C08C0 4F000015
	ds_read_b32 v82, v21 offset:4352                           // 00000000D2B0: D86C1100 52000015
	ds_read_b32 v83, v21 offset:4416                           // 00000000D2B8: D86C1140 53000015
	ds_read_b32 v86, v21 offset:6528                           // 00000000D2C0: D86C1980 56000015
	ds_read_b32 v87, v21 offset:6592                           // 00000000D2C8: D86C19C0 57000015
	ds_read_b32 v90, v21 offset:8704                           // 00000000D2D0: D86C2200 5A000015
	ds_read_b32 v91, v21 offset:8768                           // 00000000D2D8: D86C2240 5B000015
	ds_read_b32 v94, v21 offset:10880                          // 00000000D2E0: D86C2A80 5E000015
	ds_read_b32 v95, v21 offset:10944                          // 00000000D2E8: D86C2AC0 5F000015
	ds_read_b32 v98, v21 offset:13056                          // 00000000D2F0: D86C3300 62000015
	ds_read_b32 v99, v21 offset:13120                          // 00000000D2F8: D86C3340 63000015
	ds_read_b32 v102, v21 offset:15232                         // 00000000D300: D86C3B80 66000015
	ds_read_b32 v103, v21 offset:15296                         // 00000000D308: D86C3BC0 67000015
	ds_read_b32 v106, v21 offset:17408                         // 00000000D310: D86C4400 6A000015
	ds_read_b32 v107, v21 offset:17472                         // 00000000D318: D86C4440 6B000015
	ds_read_b32 v110, v21 offset:19584                         // 00000000D320: D86C4C80 6E000015
	ds_read_b32 v111, v21 offset:19648                         // 00000000D328: D86C4CC0 6F000015
	ds_read_b32 v114, v21 offset:21760                         // 00000000D330: D86C5500 72000015
	ds_read_b32 v115, v21 offset:21824                         // 00000000D338: D86C5540 73000015
	ds_read_b32 v118, v21 offset:23936                         // 00000000D340: D86C5D80 76000015
	ds_read_b32 v119, v21 offset:24000                         // 00000000D348: D86C5DC0 77000015
	ds_read_b32 v122, v21 offset:26112                         // 00000000D350: D86C6600 7A000015
	ds_read_b32 v123, v21 offset:26176                         // 00000000D358: D86C6640 7B000015
	ds_read_b32 v126, v21 offset:28288                         // 00000000D360: D86C6E80 7E000015
	ds_read_b32 v127, v21 offset:28352                         // 00000000D368: D86C6EC0 7F000015
	s_waitcnt lgkmcnt(0)                                       // 00000000D370: BF8CC07F
	v_mov_b32_e32 v7, 0                                        // 00000000D374: 7E0E0280
	s_mov_b64 exec, s[36:37]                                   // 00000000D378: BEFE0124
	v_mov_b32_e32 v6, v56                                      // 00000000D37C: 7E0C0338
	s_mov_b64 s[60:61], 0                                      // 00000000D380: BEBC0180
	v_readlane_b32 s82, v3, 0                                  // 00000000D384: D2890052 00010103
	s_and_b32 s82, s82, 0xffffff                               // 00000000D38C: 8652FF52 00FFFFFF
	s_cmp_lt_u32 s82, s66                                      // 00000000D394: BF0A4252
	s_cselect_b32 s20, s36, s60                                // 00000000D398: 85143C24
	v_readlane_b32 s82, v3, 1                                  // 00000000D39C: D2890052 00010303
	s_and_b32 s82, s82, 0xffffff                               // 00000000D3A4: 8652FF52 00FFFFFF
	s_cmp_lt_u32 s82, s66                                      // 00000000D3AC: BF0A4252
	s_cselect_b32 s21, s36, s60                                // 00000000D3B0: 85153C24
	s_mov_b64 exec, s[20:21]                                   // 00000000D3B4: BEFE0114
	global_atomic_add_f32 v6, v74, s[8:9] offset:8             // 00000000D3B8: DD348008 00084A06
	global_atomic_add_f32 v6, v78, s[8:9] offset:264           // 00000000D3C0: DD348108 00084E06
	s_mov_b64 exec, s[36:37]                                   // 00000000D3C8: BEFE0124
	v_mov_b32_e32 v6, v57                                      // 00000000D3CC: 7E0C0339
	s_mov_b64 s[60:61], 0                                      // 00000000D3D0: BEBC0180
	v_readlane_b32 s82, v3, 2                                  // 00000000D3D4: D2890052 00010503
	s_and_b32 s82, s82, 0xffffff                               // 00000000D3DC: 8652FF52 00FFFFFF
	s_cmp_lt_u32 s82, s66                                      // 00000000D3E4: BF0A4252
	s_cselect_b32 s20, s36, s60                                // 00000000D3E8: 85143C24
	v_readlane_b32 s82, v3, 3                                  // 00000000D3EC: D2890052 00010703
	s_and_b32 s82, s82, 0xffffff                               // 00000000D3F4: 8652FF52 00FFFFFF
	s_cmp_lt_u32 s82, s66                                      // 00000000D3FC: BF0A4252
	s_cselect_b32 s21, s36, s60                                // 00000000D400: 85153C24
	s_mov_b64 exec, s[20:21]                                   // 00000000D404: BEFE0114
	global_atomic_add_f32 v6, v75, s[8:9] offset:8             // 00000000D408: DD348008 00084B06
	global_atomic_add_f32 v6, v79, s[8:9] offset:264           // 00000000D410: DD348108 00084F06
	s_mov_b64 exec, s[36:37]                                   // 00000000D418: BEFE0124
	v_mov_b32_e32 v6, v58                                      // 00000000D41C: 7E0C033A
	s_mov_b64 s[60:61], 0                                      // 00000000D420: BEBC0180
	v_readlane_b32 s82, v3, 4                                  // 00000000D424: D2890052 00010903
	s_and_b32 s82, s82, 0xffffff                               // 00000000D42C: 8652FF52 00FFFFFF
	s_cmp_lt_u32 s82, s66                                      // 00000000D434: BF0A4252
	s_cselect_b32 s20, s36, s60                                // 00000000D438: 85143C24
	v_readlane_b32 s82, v3, 5                                  // 00000000D43C: D2890052 00010B03
	s_and_b32 s82, s82, 0xffffff                               // 00000000D444: 8652FF52 00FFFFFF
	s_cmp_lt_u32 s82, s66                                      // 00000000D44C: BF0A4252
	s_cselect_b32 s21, s36, s60                                // 00000000D450: 85153C24
	s_mov_b64 exec, s[20:21]                                   // 00000000D454: BEFE0114
	global_atomic_add_f32 v6, v82, s[8:9] offset:8             // 00000000D458: DD348008 00085206
	global_atomic_add_f32 v6, v86, s[8:9] offset:264           // 00000000D460: DD348108 00085606
	s_mov_b64 exec, s[36:37]                                   // 00000000D468: BEFE0124
	v_mov_b32_e32 v6, v59                                      // 00000000D46C: 7E0C033B
	s_mov_b64 s[60:61], 0                                      // 00000000D470: BEBC0180
	v_readlane_b32 s82, v3, 6                                  // 00000000D474: D2890052 00010D03
	s_and_b32 s82, s82, 0xffffff                               // 00000000D47C: 8652FF52 00FFFFFF
	s_cmp_lt_u32 s82, s66                                      // 00000000D484: BF0A4252
	s_cselect_b32 s20, s36, s60                                // 00000000D488: 85143C24
	v_readlane_b32 s82, v3, 7                                  // 00000000D48C: D2890052 00010F03
	s_and_b32 s82, s82, 0xffffff                               // 00000000D494: 8652FF52 00FFFFFF
	s_cmp_lt_u32 s82, s66                                      // 00000000D49C: BF0A4252
	s_cselect_b32 s21, s36, s60                                // 00000000D4A0: 85153C24
	s_mov_b64 exec, s[20:21]                                   // 00000000D4A4: BEFE0114
	global_atomic_add_f32 v6, v83, s[8:9] offset:8             // 00000000D4A8: DD348008 00085306
	global_atomic_add_f32 v6, v87, s[8:9] offset:264           // 00000000D4B0: DD348108 00085706
	s_mov_b64 exec, s[36:37]                                   // 00000000D4B8: BEFE0124
	v_mov_b32_e32 v6, v60                                      // 00000000D4BC: 7E0C033C
	s_mov_b64 s[60:61], 0                                      // 00000000D4C0: BEBC0180
	v_readlane_b32 s82, v3, 8                                  // 00000000D4C4: D2890052 00011103
	s_and_b32 s82, s82, 0xffffff                               // 00000000D4CC: 8652FF52 00FFFFFF
	s_cmp_lt_u32 s82, s66                                      // 00000000D4D4: BF0A4252
	s_cselect_b32 s20, s36, s60                                // 00000000D4D8: 85143C24
	v_readlane_b32 s82, v3, 9                                  // 00000000D4DC: D2890052 00011303
	s_and_b32 s82, s82, 0xffffff                               // 00000000D4E4: 8652FF52 00FFFFFF
	s_cmp_lt_u32 s82, s66                                      // 00000000D4EC: BF0A4252
	s_cselect_b32 s21, s36, s60                                // 00000000D4F0: 85153C24
	s_mov_b64 exec, s[20:21]                                   // 00000000D4F4: BEFE0114
	global_atomic_add_f32 v6, v90, s[8:9] offset:8             // 00000000D4F8: DD348008 00085A06
	global_atomic_add_f32 v6, v94, s[8:9] offset:264           // 00000000D500: DD348108 00085E06
	s_mov_b64 exec, s[36:37]                                   // 00000000D508: BEFE0124
	v_mov_b32_e32 v6, v61                                      // 00000000D50C: 7E0C033D
	s_mov_b64 s[60:61], 0                                      // 00000000D510: BEBC0180
	v_readlane_b32 s82, v3, 10                                 // 00000000D514: D2890052 00011503
	s_and_b32 s82, s82, 0xffffff                               // 00000000D51C: 8652FF52 00FFFFFF
	s_cmp_lt_u32 s82, s66                                      // 00000000D524: BF0A4252
	s_cselect_b32 s20, s36, s60                                // 00000000D528: 85143C24
	v_readlane_b32 s82, v3, 11                                 // 00000000D52C: D2890052 00011703
	s_and_b32 s82, s82, 0xffffff                               // 00000000D534: 8652FF52 00FFFFFF
	s_cmp_lt_u32 s82, s66                                      // 00000000D53C: BF0A4252
	s_cselect_b32 s21, s36, s60                                // 00000000D540: 85153C24
	s_mov_b64 exec, s[20:21]                                   // 00000000D544: BEFE0114
	global_atomic_add_f32 v6, v91, s[8:9] offset:8             // 00000000D548: DD348008 00085B06
	global_atomic_add_f32 v6, v95, s[8:9] offset:264           // 00000000D550: DD348108 00085F06
	s_mov_b64 exec, s[36:37]                                   // 00000000D558: BEFE0124
	v_mov_b32_e32 v6, v62                                      // 00000000D55C: 7E0C033E
	s_mov_b64 s[60:61], 0                                      // 00000000D560: BEBC0180
	v_readlane_b32 s82, v3, 12                                 // 00000000D564: D2890052 00011903
	s_and_b32 s82, s82, 0xffffff                               // 00000000D56C: 8652FF52 00FFFFFF
	s_cmp_lt_u32 s82, s66                                      // 00000000D574: BF0A4252
	s_cselect_b32 s20, s36, s60                                // 00000000D578: 85143C24
	v_readlane_b32 s82, v3, 13                                 // 00000000D57C: D2890052 00011B03
	s_and_b32 s82, s82, 0xffffff                               // 00000000D584: 8652FF52 00FFFFFF
	s_cmp_lt_u32 s82, s66                                      // 00000000D58C: BF0A4252
	s_cselect_b32 s21, s36, s60                                // 00000000D590: 85153C24
	s_mov_b64 exec, s[20:21]                                   // 00000000D594: BEFE0114
	global_atomic_add_f32 v6, v98, s[8:9] offset:8             // 00000000D598: DD348008 00086206
	global_atomic_add_f32 v6, v102, s[8:9] offset:264          // 00000000D5A0: DD348108 00086606
	s_mov_b64 exec, s[36:37]                                   // 00000000D5A8: BEFE0124
	v_mov_b32_e32 v6, v63                                      // 00000000D5AC: 7E0C033F
	s_mov_b64 s[60:61], 0                                      // 00000000D5B0: BEBC0180
	v_readlane_b32 s82, v3, 14                                 // 00000000D5B4: D2890052 00011D03
	s_and_b32 s82, s82, 0xffffff                               // 00000000D5BC: 8652FF52 00FFFFFF
	s_cmp_lt_u32 s82, s66                                      // 00000000D5C4: BF0A4252
	s_cselect_b32 s20, s36, s60                                // 00000000D5C8: 85143C24
	v_readlane_b32 s82, v3, 15                                 // 00000000D5CC: D2890052 00011F03
	s_and_b32 s82, s82, 0xffffff                               // 00000000D5D4: 8652FF52 00FFFFFF
	s_cmp_lt_u32 s82, s66                                      // 00000000D5DC: BF0A4252
	s_cselect_b32 s21, s36, s60                                // 00000000D5E0: 85153C24
	s_mov_b64 exec, s[20:21]                                   // 00000000D5E4: BEFE0114
	global_atomic_add_f32 v6, v99, s[8:9] offset:8             // 00000000D5E8: DD348008 00086306
	global_atomic_add_f32 v6, v103, s[8:9] offset:264          // 00000000D5F0: DD348108 00086706
	s_mov_b64 exec, s[36:37]                                   // 00000000D5F8: BEFE0124
	v_mov_b32_e32 v6, v64                                      // 00000000D5FC: 7E0C0340
	s_mov_b64 s[60:61], 0                                      // 00000000D600: BEBC0180
	v_readlane_b32 s82, v3, 16                                 // 00000000D604: D2890052 00012103
	s_and_b32 s82, s82, 0xffffff                               // 00000000D60C: 8652FF52 00FFFFFF
	s_cmp_lt_u32 s82, s66                                      // 00000000D614: BF0A4252
	s_cselect_b32 s20, s36, s60                                // 00000000D618: 85143C24
	v_readlane_b32 s82, v3, 17                                 // 00000000D61C: D2890052 00012303
	s_and_b32 s82, s82, 0xffffff                               // 00000000D624: 8652FF52 00FFFFFF
	s_cmp_lt_u32 s82, s66                                      // 00000000D62C: BF0A4252
	s_cselect_b32 s21, s36, s60                                // 00000000D630: 85153C24
	s_mov_b64 exec, s[20:21]                                   // 00000000D634: BEFE0114
	global_atomic_add_f32 v6, v106, s[8:9] offset:8            // 00000000D638: DD348008 00086A06
	global_atomic_add_f32 v6, v110, s[8:9] offset:264          // 00000000D640: DD348108 00086E06
	s_mov_b64 exec, s[36:37]                                   // 00000000D648: BEFE0124
	v_mov_b32_e32 v6, v65                                      // 00000000D64C: 7E0C0341
	s_mov_b64 s[60:61], 0                                      // 00000000D650: BEBC0180
	v_readlane_b32 s82, v3, 18                                 // 00000000D654: D2890052 00012503
	s_and_b32 s82, s82, 0xffffff                               // 00000000D65C: 8652FF52 00FFFFFF
	s_cmp_lt_u32 s82, s66                                      // 00000000D664: BF0A4252
	s_cselect_b32 s20, s36, s60                                // 00000000D668: 85143C24
	v_readlane_b32 s82, v3, 19                                 // 00000000D66C: D2890052 00012703
	s_and_b32 s82, s82, 0xffffff                               // 00000000D674: 8652FF52 00FFFFFF
	s_cmp_lt_u32 s82, s66                                      // 00000000D67C: BF0A4252
	s_cselect_b32 s21, s36, s60                                // 00000000D680: 85153C24
	s_mov_b64 exec, s[20:21]                                   // 00000000D684: BEFE0114
	global_atomic_add_f32 v6, v107, s[8:9] offset:8            // 00000000D688: DD348008 00086B06
	global_atomic_add_f32 v6, v111, s[8:9] offset:264          // 00000000D690: DD348108 00086F06
	s_mov_b64 exec, s[36:37]                                   // 00000000D698: BEFE0124
	v_mov_b32_e32 v6, v66                                      // 00000000D69C: 7E0C0342
	s_mov_b64 s[60:61], 0                                      // 00000000D6A0: BEBC0180
	v_readlane_b32 s82, v3, 20                                 // 00000000D6A4: D2890052 00012903
	s_and_b32 s82, s82, 0xffffff                               // 00000000D6AC: 8652FF52 00FFFFFF
	s_cmp_lt_u32 s82, s66                                      // 00000000D6B4: BF0A4252
	s_cselect_b32 s20, s36, s60                                // 00000000D6B8: 85143C24
	v_readlane_b32 s82, v3, 21                                 // 00000000D6BC: D2890052 00012B03
	s_and_b32 s82, s82, 0xffffff                               // 00000000D6C4: 8652FF52 00FFFFFF
	s_cmp_lt_u32 s82, s66                                      // 00000000D6CC: BF0A4252
	s_cselect_b32 s21, s36, s60                                // 00000000D6D0: 85153C24
	s_mov_b64 exec, s[20:21]                                   // 00000000D6D4: BEFE0114
	global_atomic_add_f32 v6, v114, s[8:9] offset:8            // 00000000D6D8: DD348008 00087206
	global_atomic_add_f32 v6, v118, s[8:9] offset:264          // 00000000D6E0: DD348108 00087606
	s_mov_b64 exec, s[36:37]                                   // 00000000D6E8: BEFE0124
	v_mov_b32_e32 v6, v67                                      // 00000000D6EC: 7E0C0343
	s_mov_b64 s[60:61], 0                                      // 00000000D6F0: BEBC0180
	v_readlane_b32 s82, v3, 22                                 // 00000000D6F4: D2890052 00012D03
	s_and_b32 s82, s82, 0xffffff                               // 00000000D6FC: 8652FF52 00FFFFFF
	s_cmp_lt_u32 s82, s66                                      // 00000000D704: BF0A4252
	s_cselect_b32 s20, s36, s60                                // 00000000D708: 85143C24
	v_readlane_b32 s82, v3, 23                                 // 00000000D70C: D2890052 00012F03
	s_and_b32 s82, s82, 0xffffff                               // 00000000D714: 8652FF52 00FFFFFF
	s_cmp_lt_u32 s82, s66                                      // 00000000D71C: BF0A4252
	s_cselect_b32 s21, s36, s60                                // 00000000D720: 85153C24
	s_mov_b64 exec, s[20:21]                                   // 00000000D724: BEFE0114
	global_atomic_add_f32 v6, v115, s[8:9] offset:8            // 00000000D728: DD348008 00087306
	global_atomic_add_f32 v6, v119, s[8:9] offset:264          // 00000000D730: DD348108 00087706
	s_mov_b64 exec, s[36:37]                                   // 00000000D738: BEFE0124
	v_mov_b32_e32 v6, v68                                      // 00000000D73C: 7E0C0344
	s_mov_b64 s[60:61], 0                                      // 00000000D740: BEBC0180
	v_readlane_b32 s82, v3, 24                                 // 00000000D744: D2890052 00013103
	s_and_b32 s82, s82, 0xffffff                               // 00000000D74C: 8652FF52 00FFFFFF
	s_cmp_lt_u32 s82, s66                                      // 00000000D754: BF0A4252
	s_cselect_b32 s20, s36, s60                                // 00000000D758: 85143C24
	v_readlane_b32 s82, v3, 25                                 // 00000000D75C: D2890052 00013303
	s_and_b32 s82, s82, 0xffffff                               // 00000000D764: 8652FF52 00FFFFFF
	s_cmp_lt_u32 s82, s66                                      // 00000000D76C: BF0A4252
	s_cselect_b32 s21, s36, s60                                // 00000000D770: 85153C24
	s_mov_b64 exec, s[20:21]                                   // 00000000D774: BEFE0114
	global_atomic_add_f32 v6, v122, s[8:9] offset:8            // 00000000D778: DD348008 00087A06
	global_atomic_add_f32 v6, v126, s[8:9] offset:264          // 00000000D780: DD348108 00087E06
	s_mov_b64 exec, s[36:37]                                   // 00000000D788: BEFE0124
	v_mov_b32_e32 v6, v69                                      // 00000000D78C: 7E0C0345
	s_mov_b64 s[60:61], 0                                      // 00000000D790: BEBC0180
	v_readlane_b32 s82, v3, 26                                 // 00000000D794: D2890052 00013503
	s_and_b32 s82, s82, 0xffffff                               // 00000000D79C: 8652FF52 00FFFFFF
	s_cmp_lt_u32 s82, s66                                      // 00000000D7A4: BF0A4252
	s_cselect_b32 s20, s36, s60                                // 00000000D7A8: 85143C24
	v_readlane_b32 s82, v3, 27                                 // 00000000D7AC: D2890052 00013703
	s_and_b32 s82, s82, 0xffffff                               // 00000000D7B4: 8652FF52 00FFFFFF
	s_cmp_lt_u32 s82, s66                                      // 00000000D7BC: BF0A4252
	s_cselect_b32 s21, s36, s60                                // 00000000D7C0: 85153C24
	s_mov_b64 exec, s[20:21]                                   // 00000000D7C4: BEFE0114
	global_atomic_add_f32 v6, v123, s[8:9] offset:8            // 00000000D7C8: DD348008 00087B06
	global_atomic_add_f32 v6, v127, s[8:9] offset:264          // 00000000D7D0: DD348108 00087F06
	s_mov_b64 exec, s[36:37]                                   // 00000000D7D8: BEFE0124
	ds_write_b64 v20, v[128:129]                               // 00000000D7DC: D89A0000 00008014
	ds_write_b64 v20, v[132:133] offset:4352                   // 00000000D7E4: D89A1100 00008414
	ds_write_b64 v20, v[136:137] offset:8704                   // 00000000D7EC: D89A2200 00008814
	ds_write_b64 v20, v[140:141] offset:13056                  // 00000000D7F4: D89A3300 00008C14
	ds_write_b64 v20, v[144:145] offset:17408                  // 00000000D7FC: D89A4400 00009014
	ds_write_b64 v20, v[148:149] offset:21760                  // 00000000D804: D89A5500 00009414
	ds_write_b64 v20, v[152:153] offset:26112                  // 00000000D80C: D89A6600 00009814
	ds_write_b64 v20, v[156:157] offset:2176                   // 00000000D814: D89A0880 00009C14
	ds_write_b64 v20, v[160:161] offset:6528                   // 00000000D81C: D89A1980 0000A014
	ds_write_b64 v20, v[164:165] offset:10880                  // 00000000D824: D89A2A80 0000A414
	ds_write_b64 v20, v[168:169] offset:15232                  // 00000000D82C: D89A3B80 0000A814
	ds_write_b64 v20, v[172:173] offset:19584                  // 00000000D834: D89A4C80 0000AC14
	ds_write_b64 v20, v[176:177] offset:23936                  // 00000000D83C: D89A5D80 0000B014
	ds_write_b64 v20, v[180:181] offset:28288                  // 00000000D844: D89A6E80 0000B414
	s_waitcnt lgkmcnt(0)                                       // 00000000D84C: BF8CC07F
	s_barrier                                                  // 00000000D850: BF8A0000
	ds_read_b32 v128, v21                                      // 00000000D854: D86C0000 80000015
	ds_read_b32 v129, v21 offset:64                            // 00000000D85C: D86C0040 81000015
	ds_read_b32 v132, v21 offset:2176                          // 00000000D864: D86C0880 84000015
	ds_read_b32 v133, v21 offset:2240                          // 00000000D86C: D86C08C0 85000015
	ds_read_b32 v136, v21 offset:4352                          // 00000000D874: D86C1100 88000015
	ds_read_b32 v137, v21 offset:4416                          // 00000000D87C: D86C1140 89000015
	ds_read_b32 v140, v21 offset:6528                          // 00000000D884: D86C1980 8C000015
	ds_read_b32 v141, v21 offset:6592                          // 00000000D88C: D86C19C0 8D000015
	ds_read_b32 v144, v21 offset:8704                          // 00000000D894: D86C2200 90000015
	ds_read_b32 v145, v21 offset:8768                          // 00000000D89C: D86C2240 91000015
	ds_read_b32 v148, v21 offset:10880                         // 00000000D8A4: D86C2A80 94000015
	ds_read_b32 v149, v21 offset:10944                         // 00000000D8AC: D86C2AC0 95000015
	ds_read_b32 v152, v21 offset:13056                         // 00000000D8B4: D86C3300 98000015
	ds_read_b32 v153, v21 offset:13120                         // 00000000D8BC: D86C3340 99000015
	ds_read_b32 v156, v21 offset:15232                         // 00000000D8C4: D86C3B80 9C000015
	ds_read_b32 v157, v21 offset:15296                         // 00000000D8CC: D86C3BC0 9D000015
	ds_read_b32 v160, v21 offset:17408                         // 00000000D8D4: D86C4400 A0000015
	ds_read_b32 v161, v21 offset:17472                         // 00000000D8DC: D86C4440 A1000015
	ds_read_b32 v164, v21 offset:19584                         // 00000000D8E4: D86C4C80 A4000015
	ds_read_b32 v165, v21 offset:19648                         // 00000000D8EC: D86C4CC0 A5000015
	ds_read_b32 v168, v21 offset:21760                         // 00000000D8F4: D86C5500 A8000015
	ds_read_b32 v169, v21 offset:21824                         // 00000000D8FC: D86C5540 A9000015
	ds_read_b32 v172, v21 offset:23936                         // 00000000D904: D86C5D80 AC000015
	ds_read_b32 v173, v21 offset:24000                         // 00000000D90C: D86C5DC0 AD000015
	ds_read_b32 v176, v21 offset:26112                         // 00000000D914: D86C6600 B0000015
	ds_read_b32 v177, v21 offset:26176                         // 00000000D91C: D86C6640 B1000015
	ds_read_b32 v180, v21 offset:28288                         // 00000000D924: D86C6E80 B4000015
	ds_read_b32 v181, v21 offset:28352                         // 00000000D92C: D86C6EC0 B5000015
	s_mul_i32 s60, s65, 4                                      // 00000000D934: 923C8441
	s_add_u32 s8, s60, s8                                      // 00000000D938: 8008083C
	s_addc_u32 s9, 0, s9                                       // 00000000D93C: 82090980
	s_waitcnt lgkmcnt(0)                                       // 00000000D940: BF8CC07F
	v_mov_b32_e32 v7, 0                                        // 00000000D944: 7E0E0280
	s_mov_b64 exec, s[36:37]                                   // 00000000D948: BEFE0124
	v_mov_b32_e32 v6, v56                                      // 00000000D94C: 7E0C0338
	s_mov_b64 s[60:61], 0                                      // 00000000D950: BEBC0180
	v_readlane_b32 s82, v3, 0                                  // 00000000D954: D2890052 00010103
	s_and_b32 s82, s82, 0xffffff                               // 00000000D95C: 8652FF52 00FFFFFF
	s_cmp_lt_u32 s82, s66                                      // 00000000D964: BF0A4252
	s_cselect_b32 s20, s36, s60                                // 00000000D968: 85143C24
	v_readlane_b32 s82, v3, 1                                  // 00000000D96C: D2890052 00010303
	s_and_b32 s82, s82, 0xffffff                               // 00000000D974: 8652FF52 00FFFFFF
	s_cmp_lt_u32 s82, s66                                      // 00000000D97C: BF0A4252
	s_cselect_b32 s21, s36, s60                                // 00000000D980: 85153C24
	s_mov_b64 exec, s[20:21]                                   // 00000000D984: BEFE0114
	global_atomic_add_f32 v6, v128, s[8:9]                     // 00000000D988: DD348000 00088006
	global_atomic_add_f32 v6, v132, s[8:9] offset:256          // 00000000D990: DD348100 00088406
	s_mov_b64 exec, s[36:37]                                   // 00000000D998: BEFE0124
	v_mov_b32_e32 v6, v57                                      // 00000000D99C: 7E0C0339
	s_mov_b64 s[60:61], 0                                      // 00000000D9A0: BEBC0180
	v_readlane_b32 s82, v3, 2                                  // 00000000D9A4: D2890052 00010503
	s_and_b32 s82, s82, 0xffffff                               // 00000000D9AC: 8652FF52 00FFFFFF
	s_cmp_lt_u32 s82, s66                                      // 00000000D9B4: BF0A4252
	s_cselect_b32 s20, s36, s60                                // 00000000D9B8: 85143C24
	v_readlane_b32 s82, v3, 3                                  // 00000000D9BC: D2890052 00010703
	s_and_b32 s82, s82, 0xffffff                               // 00000000D9C4: 8652FF52 00FFFFFF
	s_cmp_lt_u32 s82, s66                                      // 00000000D9CC: BF0A4252
	s_cselect_b32 s21, s36, s60                                // 00000000D9D0: 85153C24
	s_mov_b64 exec, s[20:21]                                   // 00000000D9D4: BEFE0114
	global_atomic_add_f32 v6, v129, s[8:9]                     // 00000000D9D8: DD348000 00088106
	global_atomic_add_f32 v6, v133, s[8:9] offset:256          // 00000000D9E0: DD348100 00088506
	s_mov_b64 exec, s[36:37]                                   // 00000000D9E8: BEFE0124
	v_mov_b32_e32 v6, v58                                      // 00000000D9EC: 7E0C033A
	s_mov_b64 s[60:61], 0                                      // 00000000D9F0: BEBC0180
	v_readlane_b32 s82, v3, 4                                  // 00000000D9F4: D2890052 00010903
	s_and_b32 s82, s82, 0xffffff                               // 00000000D9FC: 8652FF52 00FFFFFF
	s_cmp_lt_u32 s82, s66                                      // 00000000DA04: BF0A4252
	s_cselect_b32 s20, s36, s60                                // 00000000DA08: 85143C24
	v_readlane_b32 s82, v3, 5                                  // 00000000DA0C: D2890052 00010B03
	s_and_b32 s82, s82, 0xffffff                               // 00000000DA14: 8652FF52 00FFFFFF
	s_cmp_lt_u32 s82, s66                                      // 00000000DA1C: BF0A4252
	s_cselect_b32 s21, s36, s60                                // 00000000DA20: 85153C24
	s_mov_b64 exec, s[20:21]                                   // 00000000DA24: BEFE0114
	global_atomic_add_f32 v6, v136, s[8:9]                     // 00000000DA28: DD348000 00088806
	global_atomic_add_f32 v6, v140, s[8:9] offset:256          // 00000000DA30: DD348100 00088C06
	s_mov_b64 exec, s[36:37]                                   // 00000000DA38: BEFE0124
	v_mov_b32_e32 v6, v59                                      // 00000000DA3C: 7E0C033B
	s_mov_b64 s[60:61], 0                                      // 00000000DA40: BEBC0180
	v_readlane_b32 s82, v3, 6                                  // 00000000DA44: D2890052 00010D03
	s_and_b32 s82, s82, 0xffffff                               // 00000000DA4C: 8652FF52 00FFFFFF
	s_cmp_lt_u32 s82, s66                                      // 00000000DA54: BF0A4252
	s_cselect_b32 s20, s36, s60                                // 00000000DA58: 85143C24
	v_readlane_b32 s82, v3, 7                                  // 00000000DA5C: D2890052 00010F03
	s_and_b32 s82, s82, 0xffffff                               // 00000000DA64: 8652FF52 00FFFFFF
	s_cmp_lt_u32 s82, s66                                      // 00000000DA6C: BF0A4252
	s_cselect_b32 s21, s36, s60                                // 00000000DA70: 85153C24
	s_mov_b64 exec, s[20:21]                                   // 00000000DA74: BEFE0114
	global_atomic_add_f32 v6, v137, s[8:9]                     // 00000000DA78: DD348000 00088906
	global_atomic_add_f32 v6, v141, s[8:9] offset:256          // 00000000DA80: DD348100 00088D06
	s_mov_b64 exec, s[36:37]                                   // 00000000DA88: BEFE0124
	v_mov_b32_e32 v6, v60                                      // 00000000DA8C: 7E0C033C
	s_mov_b64 s[60:61], 0                                      // 00000000DA90: BEBC0180
	v_readlane_b32 s82, v3, 8                                  // 00000000DA94: D2890052 00011103
	s_and_b32 s82, s82, 0xffffff                               // 00000000DA9C: 8652FF52 00FFFFFF
	s_cmp_lt_u32 s82, s66                                      // 00000000DAA4: BF0A4252
	s_cselect_b32 s20, s36, s60                                // 00000000DAA8: 85143C24
	v_readlane_b32 s82, v3, 9                                  // 00000000DAAC: D2890052 00011303
	s_and_b32 s82, s82, 0xffffff                               // 00000000DAB4: 8652FF52 00FFFFFF
	s_cmp_lt_u32 s82, s66                                      // 00000000DABC: BF0A4252
	s_cselect_b32 s21, s36, s60                                // 00000000DAC0: 85153C24
	s_mov_b64 exec, s[20:21]                                   // 00000000DAC4: BEFE0114
	global_atomic_add_f32 v6, v144, s[8:9]                     // 00000000DAC8: DD348000 00089006
	global_atomic_add_f32 v6, v148, s[8:9] offset:256          // 00000000DAD0: DD348100 00089406
	s_mov_b64 exec, s[36:37]                                   // 00000000DAD8: BEFE0124
	v_mov_b32_e32 v6, v61                                      // 00000000DADC: 7E0C033D
	s_mov_b64 s[60:61], 0                                      // 00000000DAE0: BEBC0180
	v_readlane_b32 s82, v3, 10                                 // 00000000DAE4: D2890052 00011503
	s_and_b32 s82, s82, 0xffffff                               // 00000000DAEC: 8652FF52 00FFFFFF
	s_cmp_lt_u32 s82, s66                                      // 00000000DAF4: BF0A4252
	s_cselect_b32 s20, s36, s60                                // 00000000DAF8: 85143C24
	v_readlane_b32 s82, v3, 11                                 // 00000000DAFC: D2890052 00011703
	s_and_b32 s82, s82, 0xffffff                               // 00000000DB04: 8652FF52 00FFFFFF
	s_cmp_lt_u32 s82, s66                                      // 00000000DB0C: BF0A4252
	s_cselect_b32 s21, s36, s60                                // 00000000DB10: 85153C24
	s_mov_b64 exec, s[20:21]                                   // 00000000DB14: BEFE0114
	global_atomic_add_f32 v6, v145, s[8:9]                     // 00000000DB18: DD348000 00089106
	global_atomic_add_f32 v6, v149, s[8:9] offset:256          // 00000000DB20: DD348100 00089506
	s_mov_b64 exec, s[36:37]                                   // 00000000DB28: BEFE0124
	v_mov_b32_e32 v6, v62                                      // 00000000DB2C: 7E0C033E
	s_mov_b64 s[60:61], 0                                      // 00000000DB30: BEBC0180
	v_readlane_b32 s82, v3, 12                                 // 00000000DB34: D2890052 00011903
	s_and_b32 s82, s82, 0xffffff                               // 00000000DB3C: 8652FF52 00FFFFFF
	s_cmp_lt_u32 s82, s66                                      // 00000000DB44: BF0A4252
	s_cselect_b32 s20, s36, s60                                // 00000000DB48: 85143C24
	v_readlane_b32 s82, v3, 13                                 // 00000000DB4C: D2890052 00011B03
	s_and_b32 s82, s82, 0xffffff                               // 00000000DB54: 8652FF52 00FFFFFF
	s_cmp_lt_u32 s82, s66                                      // 00000000DB5C: BF0A4252
	s_cselect_b32 s21, s36, s60                                // 00000000DB60: 85153C24
	s_mov_b64 exec, s[20:21]                                   // 00000000DB64: BEFE0114
	global_atomic_add_f32 v6, v152, s[8:9]                     // 00000000DB68: DD348000 00089806
	global_atomic_add_f32 v6, v156, s[8:9] offset:256          // 00000000DB70: DD348100 00089C06
	s_mov_b64 exec, s[36:37]                                   // 00000000DB78: BEFE0124
	v_mov_b32_e32 v6, v63                                      // 00000000DB7C: 7E0C033F
	s_mov_b64 s[60:61], 0                                      // 00000000DB80: BEBC0180
	v_readlane_b32 s82, v3, 14                                 // 00000000DB84: D2890052 00011D03
	s_and_b32 s82, s82, 0xffffff                               // 00000000DB8C: 8652FF52 00FFFFFF
	s_cmp_lt_u32 s82, s66                                      // 00000000DB94: BF0A4252
	s_cselect_b32 s20, s36, s60                                // 00000000DB98: 85143C24
	v_readlane_b32 s82, v3, 15                                 // 00000000DB9C: D2890052 00011F03
	s_and_b32 s82, s82, 0xffffff                               // 00000000DBA4: 8652FF52 00FFFFFF
	s_cmp_lt_u32 s82, s66                                      // 00000000DBAC: BF0A4252
	s_cselect_b32 s21, s36, s60                                // 00000000DBB0: 85153C24
	s_mov_b64 exec, s[20:21]                                   // 00000000DBB4: BEFE0114
	global_atomic_add_f32 v6, v153, s[8:9]                     // 00000000DBB8: DD348000 00089906
	global_atomic_add_f32 v6, v157, s[8:9] offset:256          // 00000000DBC0: DD348100 00089D06
	s_mov_b64 exec, s[36:37]                                   // 00000000DBC8: BEFE0124
	v_mov_b32_e32 v6, v64                                      // 00000000DBCC: 7E0C0340
	s_mov_b64 s[60:61], 0                                      // 00000000DBD0: BEBC0180
	v_readlane_b32 s82, v3, 16                                 // 00000000DBD4: D2890052 00012103
	s_and_b32 s82, s82, 0xffffff                               // 00000000DBDC: 8652FF52 00FFFFFF
	s_cmp_lt_u32 s82, s66                                      // 00000000DBE4: BF0A4252
	s_cselect_b32 s20, s36, s60                                // 00000000DBE8: 85143C24
	v_readlane_b32 s82, v3, 17                                 // 00000000DBEC: D2890052 00012303
	s_and_b32 s82, s82, 0xffffff                               // 00000000DBF4: 8652FF52 00FFFFFF
	s_cmp_lt_u32 s82, s66                                      // 00000000DBFC: BF0A4252
	s_cselect_b32 s21, s36, s60                                // 00000000DC00: 85153C24
	s_mov_b64 exec, s[20:21]                                   // 00000000DC04: BEFE0114
	global_atomic_add_f32 v6, v160, s[8:9]                     // 00000000DC08: DD348000 0008A006
	global_atomic_add_f32 v6, v164, s[8:9] offset:256          // 00000000DC10: DD348100 0008A406
	s_mov_b64 exec, s[36:37]                                   // 00000000DC18: BEFE0124
	v_mov_b32_e32 v6, v65                                      // 00000000DC1C: 7E0C0341
	s_mov_b64 s[60:61], 0                                      // 00000000DC20: BEBC0180
	v_readlane_b32 s82, v3, 18                                 // 00000000DC24: D2890052 00012503
	s_and_b32 s82, s82, 0xffffff                               // 00000000DC2C: 8652FF52 00FFFFFF
	s_cmp_lt_u32 s82, s66                                      // 00000000DC34: BF0A4252
	s_cselect_b32 s20, s36, s60                                // 00000000DC38: 85143C24
	v_readlane_b32 s82, v3, 19                                 // 00000000DC3C: D2890052 00012703
	s_and_b32 s82, s82, 0xffffff                               // 00000000DC44: 8652FF52 00FFFFFF
	s_cmp_lt_u32 s82, s66                                      // 00000000DC4C: BF0A4252
	s_cselect_b32 s21, s36, s60                                // 00000000DC50: 85153C24
	s_mov_b64 exec, s[20:21]                                   // 00000000DC54: BEFE0114
	global_atomic_add_f32 v6, v161, s[8:9]                     // 00000000DC58: DD348000 0008A106
	global_atomic_add_f32 v6, v165, s[8:9] offset:256          // 00000000DC60: DD348100 0008A506
	s_mov_b64 exec, s[36:37]                                   // 00000000DC68: BEFE0124
	v_mov_b32_e32 v6, v66                                      // 00000000DC6C: 7E0C0342
	s_mov_b64 s[60:61], 0                                      // 00000000DC70: BEBC0180
	v_readlane_b32 s82, v3, 20                                 // 00000000DC74: D2890052 00012903
	s_and_b32 s82, s82, 0xffffff                               // 00000000DC7C: 8652FF52 00FFFFFF
	s_cmp_lt_u32 s82, s66                                      // 00000000DC84: BF0A4252
	s_cselect_b32 s20, s36, s60                                // 00000000DC88: 85143C24
	v_readlane_b32 s82, v3, 21                                 // 00000000DC8C: D2890052 00012B03
	s_and_b32 s82, s82, 0xffffff                               // 00000000DC94: 8652FF52 00FFFFFF
	s_cmp_lt_u32 s82, s66                                      // 00000000DC9C: BF0A4252
	s_cselect_b32 s21, s36, s60                                // 00000000DCA0: 85153C24
	s_mov_b64 exec, s[20:21]                                   // 00000000DCA4: BEFE0114
	global_atomic_add_f32 v6, v168, s[8:9]                     // 00000000DCA8: DD348000 0008A806
	global_atomic_add_f32 v6, v172, s[8:9] offset:256          // 00000000DCB0: DD348100 0008AC06
	s_mov_b64 exec, s[36:37]                                   // 00000000DCB8: BEFE0124
	v_mov_b32_e32 v6, v67                                      // 00000000DCBC: 7E0C0343
	s_mov_b64 s[60:61], 0                                      // 00000000DCC0: BEBC0180
	v_readlane_b32 s82, v3, 22                                 // 00000000DCC4: D2890052 00012D03
	s_and_b32 s82, s82, 0xffffff                               // 00000000DCCC: 8652FF52 00FFFFFF
	s_cmp_lt_u32 s82, s66                                      // 00000000DCD4: BF0A4252
	s_cselect_b32 s20, s36, s60                                // 00000000DCD8: 85143C24
	v_readlane_b32 s82, v3, 23                                 // 00000000DCDC: D2890052 00012F03
	s_and_b32 s82, s82, 0xffffff                               // 00000000DCE4: 8652FF52 00FFFFFF
	s_cmp_lt_u32 s82, s66                                      // 00000000DCEC: BF0A4252
	s_cselect_b32 s21, s36, s60                                // 00000000DCF0: 85153C24
	s_mov_b64 exec, s[20:21]                                   // 00000000DCF4: BEFE0114
	global_atomic_add_f32 v6, v169, s[8:9]                     // 00000000DCF8: DD348000 0008A906
	global_atomic_add_f32 v6, v173, s[8:9] offset:256          // 00000000DD00: DD348100 0008AD06
	s_mov_b64 exec, s[36:37]                                   // 00000000DD08: BEFE0124
	v_mov_b32_e32 v6, v68                                      // 00000000DD0C: 7E0C0344
	s_mov_b64 s[60:61], 0                                      // 00000000DD10: BEBC0180
	v_readlane_b32 s82, v3, 24                                 // 00000000DD14: D2890052 00013103
	s_and_b32 s82, s82, 0xffffff                               // 00000000DD1C: 8652FF52 00FFFFFF
	s_cmp_lt_u32 s82, s66                                      // 00000000DD24: BF0A4252
	s_cselect_b32 s20, s36, s60                                // 00000000DD28: 85143C24
	v_readlane_b32 s82, v3, 25                                 // 00000000DD2C: D2890052 00013303
	s_and_b32 s82, s82, 0xffffff                               // 00000000DD34: 8652FF52 00FFFFFF
	s_cmp_lt_u32 s82, s66                                      // 00000000DD3C: BF0A4252
	s_cselect_b32 s21, s36, s60                                // 00000000DD40: 85153C24
	s_mov_b64 exec, s[20:21]                                   // 00000000DD44: BEFE0114
	global_atomic_add_f32 v6, v176, s[8:9]                     // 00000000DD48: DD348000 0008B006
	global_atomic_add_f32 v6, v180, s[8:9] offset:256          // 00000000DD50: DD348100 0008B406
	s_mov_b64 exec, s[36:37]                                   // 00000000DD58: BEFE0124
	v_mov_b32_e32 v6, v69                                      // 00000000DD5C: 7E0C0345
	s_mov_b64 s[60:61], 0                                      // 00000000DD60: BEBC0180
	v_readlane_b32 s82, v3, 26                                 // 00000000DD64: D2890052 00013503
	s_and_b32 s82, s82, 0xffffff                               // 00000000DD6C: 8652FF52 00FFFFFF
	s_cmp_lt_u32 s82, s66                                      // 00000000DD74: BF0A4252
	s_cselect_b32 s20, s36, s60                                // 00000000DD78: 85143C24
	v_readlane_b32 s82, v3, 27                                 // 00000000DD7C: D2890052 00013703
	s_and_b32 s82, s82, 0xffffff                               // 00000000DD84: 8652FF52 00FFFFFF
	s_cmp_lt_u32 s82, s66                                      // 00000000DD8C: BF0A4252
	s_cselect_b32 s21, s36, s60                                // 00000000DD90: 85153C24
	s_mov_b64 exec, s[20:21]                                   // 00000000DD94: BEFE0114
	global_atomic_add_f32 v6, v177, s[8:9]                     // 00000000DD98: DD348000 0008B106
	global_atomic_add_f32 v6, v181, s[8:9] offset:256          // 00000000DDA0: DD348100 0008B506
	s_mov_b64 exec, s[36:37]                                   // 00000000DDA8: BEFE0124
	ds_write_b64 v20, v[130:131]                               // 00000000DDAC: D89A0000 00008214
	ds_write_b64 v20, v[134:135] offset:4352                   // 00000000DDB4: D89A1100 00008614
	ds_write_b64 v20, v[138:139] offset:8704                   // 00000000DDBC: D89A2200 00008A14
	ds_write_b64 v20, v[142:143] offset:13056                  // 00000000DDC4: D89A3300 00008E14
	ds_write_b64 v20, v[146:147] offset:17408                  // 00000000DDCC: D89A4400 00009214
	ds_write_b64 v20, v[150:151] offset:21760                  // 00000000DDD4: D89A5500 00009614
	ds_write_b64 v20, v[154:155] offset:26112                  // 00000000DDDC: D89A6600 00009A14
	ds_write_b64 v20, v[158:159] offset:2176                   // 00000000DDE4: D89A0880 00009E14
	ds_write_b64 v20, v[162:163] offset:6528                   // 00000000DDEC: D89A1980 0000A214
	ds_write_b64 v20, v[166:167] offset:10880                  // 00000000DDF4: D89A2A80 0000A614
	ds_write_b64 v20, v[170:171] offset:15232                  // 00000000DDFC: D89A3B80 0000AA14
	ds_write_b64 v20, v[174:175] offset:19584                  // 00000000DE04: D89A4C80 0000AE14
	ds_write_b64 v20, v[178:179] offset:23936                  // 00000000DE0C: D89A5D80 0000B214
	ds_write_b64 v20, v[182:183] offset:28288                  // 00000000DE14: D89A6E80 0000B614
	s_waitcnt lgkmcnt(0)                                       // 00000000DE1C: BF8CC07F
	s_barrier                                                  // 00000000DE20: BF8A0000
	ds_read_b32 v130, v21                                      // 00000000DE24: D86C0000 82000015
	ds_read_b32 v131, v21 offset:64                            // 00000000DE2C: D86C0040 83000015
	ds_read_b32 v134, v21 offset:2176                          // 00000000DE34: D86C0880 86000015
	ds_read_b32 v135, v21 offset:2240                          // 00000000DE3C: D86C08C0 87000015
	ds_read_b32 v138, v21 offset:4352                          // 00000000DE44: D86C1100 8A000015
	ds_read_b32 v139, v21 offset:4416                          // 00000000DE4C: D86C1140 8B000015
	ds_read_b32 v142, v21 offset:6528                          // 00000000DE54: D86C1980 8E000015
	ds_read_b32 v143, v21 offset:6592                          // 00000000DE5C: D86C19C0 8F000015
	ds_read_b32 v146, v21 offset:8704                          // 00000000DE64: D86C2200 92000015
	ds_read_b32 v147, v21 offset:8768                          // 00000000DE6C: D86C2240 93000015
	ds_read_b32 v150, v21 offset:10880                         // 00000000DE74: D86C2A80 96000015
	ds_read_b32 v151, v21 offset:10944                         // 00000000DE7C: D86C2AC0 97000015
	ds_read_b32 v154, v21 offset:13056                         // 00000000DE84: D86C3300 9A000015
	ds_read_b32 v155, v21 offset:13120                         // 00000000DE8C: D86C3340 9B000015
	ds_read_b32 v158, v21 offset:15232                         // 00000000DE94: D86C3B80 9E000015
	ds_read_b32 v159, v21 offset:15296                         // 00000000DE9C: D86C3BC0 9F000015
	ds_read_b32 v162, v21 offset:17408                         // 00000000DEA4: D86C4400 A2000015
	ds_read_b32 v163, v21 offset:17472                         // 00000000DEAC: D86C4440 A3000015
	ds_read_b32 v166, v21 offset:19584                         // 00000000DEB4: D86C4C80 A6000015
	ds_read_b32 v167, v21 offset:19648                         // 00000000DEBC: D86C4CC0 A7000015
	ds_read_b32 v170, v21 offset:21760                         // 00000000DEC4: D86C5500 AA000015
	ds_read_b32 v171, v21 offset:21824                         // 00000000DECC: D86C5540 AB000015
	ds_read_b32 v174, v21 offset:23936                         // 00000000DED4: D86C5D80 AE000015
	ds_read_b32 v175, v21 offset:24000                         // 00000000DEDC: D86C5DC0 AF000015
	ds_read_b32 v178, v21 offset:26112                         // 00000000DEE4: D86C6600 B2000015
	ds_read_b32 v179, v21 offset:26176                         // 00000000DEEC: D86C6640 B3000015
	ds_read_b32 v182, v21 offset:28288                         // 00000000DEF4: D86C6E80 B6000015
	ds_read_b32 v183, v21 offset:28352                         // 00000000DEFC: D86C6EC0 B7000015
	s_waitcnt lgkmcnt(0)                                       // 00000000DF04: BF8CC07F
	v_mov_b32_e32 v7, 0                                        // 00000000DF08: 7E0E0280
	s_mov_b64 exec, s[36:37]                                   // 00000000DF0C: BEFE0124
	v_mov_b32_e32 v6, v56                                      // 00000000DF10: 7E0C0338
	s_mov_b64 s[60:61], 0                                      // 00000000DF14: BEBC0180
	v_readlane_b32 s82, v3, 0                                  // 00000000DF18: D2890052 00010103
	s_and_b32 s82, s82, 0xffffff                               // 00000000DF20: 8652FF52 00FFFFFF
	s_cmp_lt_u32 s82, s66                                      // 00000000DF28: BF0A4252
	s_cselect_b32 s20, s36, s60                                // 00000000DF2C: 85143C24
	v_readlane_b32 s82, v3, 1                                  // 00000000DF30: D2890052 00010303
	s_and_b32 s82, s82, 0xffffff                               // 00000000DF38: 8652FF52 00FFFFFF
	s_cmp_lt_u32 s82, s66                                      // 00000000DF40: BF0A4252
	s_cselect_b32 s21, s36, s60                                // 00000000DF44: 85153C24
	s_mov_b64 exec, s[20:21]                                   // 00000000DF48: BEFE0114
	global_atomic_add_f32 v6, v130, s[8:9] offset:8            // 00000000DF4C: DD348008 00088206
	global_atomic_add_f32 v6, v134, s[8:9] offset:264          // 00000000DF54: DD348108 00088606
	s_mov_b64 exec, s[36:37]                                   // 00000000DF5C: BEFE0124
	v_mov_b32_e32 v6, v57                                      // 00000000DF60: 7E0C0339
	s_mov_b64 s[60:61], 0                                      // 00000000DF64: BEBC0180
	v_readlane_b32 s82, v3, 2                                  // 00000000DF68: D2890052 00010503
	s_and_b32 s82, s82, 0xffffff                               // 00000000DF70: 8652FF52 00FFFFFF
	s_cmp_lt_u32 s82, s66                                      // 00000000DF78: BF0A4252
	s_cselect_b32 s20, s36, s60                                // 00000000DF7C: 85143C24
	v_readlane_b32 s82, v3, 3                                  // 00000000DF80: D2890052 00010703
	s_and_b32 s82, s82, 0xffffff                               // 00000000DF88: 8652FF52 00FFFFFF
	s_cmp_lt_u32 s82, s66                                      // 00000000DF90: BF0A4252
	s_cselect_b32 s21, s36, s60                                // 00000000DF94: 85153C24
	s_mov_b64 exec, s[20:21]                                   // 00000000DF98: BEFE0114
	global_atomic_add_f32 v6, v131, s[8:9] offset:8            // 00000000DF9C: DD348008 00088306
	global_atomic_add_f32 v6, v135, s[8:9] offset:264          // 00000000DFA4: DD348108 00088706
	s_mov_b64 exec, s[36:37]                                   // 00000000DFAC: BEFE0124
	v_mov_b32_e32 v6, v58                                      // 00000000DFB0: 7E0C033A
	s_mov_b64 s[60:61], 0                                      // 00000000DFB4: BEBC0180
	v_readlane_b32 s82, v3, 4                                  // 00000000DFB8: D2890052 00010903
	s_and_b32 s82, s82, 0xffffff                               // 00000000DFC0: 8652FF52 00FFFFFF
	s_cmp_lt_u32 s82, s66                                      // 00000000DFC8: BF0A4252
	s_cselect_b32 s20, s36, s60                                // 00000000DFCC: 85143C24
	v_readlane_b32 s82, v3, 5                                  // 00000000DFD0: D2890052 00010B03
	s_and_b32 s82, s82, 0xffffff                               // 00000000DFD8: 8652FF52 00FFFFFF
	s_cmp_lt_u32 s82, s66                                      // 00000000DFE0: BF0A4252
	s_cselect_b32 s21, s36, s60                                // 00000000DFE4: 85153C24
	s_mov_b64 exec, s[20:21]                                   // 00000000DFE8: BEFE0114
	global_atomic_add_f32 v6, v138, s[8:9] offset:8            // 00000000DFEC: DD348008 00088A06
	global_atomic_add_f32 v6, v142, s[8:9] offset:264          // 00000000DFF4: DD348108 00088E06
	s_mov_b64 exec, s[36:37]                                   // 00000000DFFC: BEFE0124
	v_mov_b32_e32 v6, v59                                      // 00000000E000: 7E0C033B
	s_mov_b64 s[60:61], 0                                      // 00000000E004: BEBC0180
	v_readlane_b32 s82, v3, 6                                  // 00000000E008: D2890052 00010D03
	s_and_b32 s82, s82, 0xffffff                               // 00000000E010: 8652FF52 00FFFFFF
	s_cmp_lt_u32 s82, s66                                      // 00000000E018: BF0A4252
	s_cselect_b32 s20, s36, s60                                // 00000000E01C: 85143C24
	v_readlane_b32 s82, v3, 7                                  // 00000000E020: D2890052 00010F03
	s_and_b32 s82, s82, 0xffffff                               // 00000000E028: 8652FF52 00FFFFFF
	s_cmp_lt_u32 s82, s66                                      // 00000000E030: BF0A4252
	s_cselect_b32 s21, s36, s60                                // 00000000E034: 85153C24
	s_mov_b64 exec, s[20:21]                                   // 00000000E038: BEFE0114
	global_atomic_add_f32 v6, v139, s[8:9] offset:8            // 00000000E03C: DD348008 00088B06
	global_atomic_add_f32 v6, v143, s[8:9] offset:264          // 00000000E044: DD348108 00088F06
	s_mov_b64 exec, s[36:37]                                   // 00000000E04C: BEFE0124
	v_mov_b32_e32 v6, v60                                      // 00000000E050: 7E0C033C
	s_mov_b64 s[60:61], 0                                      // 00000000E054: BEBC0180
	v_readlane_b32 s82, v3, 8                                  // 00000000E058: D2890052 00011103
	s_and_b32 s82, s82, 0xffffff                               // 00000000E060: 8652FF52 00FFFFFF
	s_cmp_lt_u32 s82, s66                                      // 00000000E068: BF0A4252
	s_cselect_b32 s20, s36, s60                                // 00000000E06C: 85143C24
	v_readlane_b32 s82, v3, 9                                  // 00000000E070: D2890052 00011303
	s_and_b32 s82, s82, 0xffffff                               // 00000000E078: 8652FF52 00FFFFFF
	s_cmp_lt_u32 s82, s66                                      // 00000000E080: BF0A4252
	s_cselect_b32 s21, s36, s60                                // 00000000E084: 85153C24
	s_mov_b64 exec, s[20:21]                                   // 00000000E088: BEFE0114
	global_atomic_add_f32 v6, v146, s[8:9] offset:8            // 00000000E08C: DD348008 00089206
	global_atomic_add_f32 v6, v150, s[8:9] offset:264          // 00000000E094: DD348108 00089606
	s_mov_b64 exec, s[36:37]                                   // 00000000E09C: BEFE0124
	v_mov_b32_e32 v6, v61                                      // 00000000E0A0: 7E0C033D
	s_mov_b64 s[60:61], 0                                      // 00000000E0A4: BEBC0180
	v_readlane_b32 s82, v3, 10                                 // 00000000E0A8: D2890052 00011503
	s_and_b32 s82, s82, 0xffffff                               // 00000000E0B0: 8652FF52 00FFFFFF
	s_cmp_lt_u32 s82, s66                                      // 00000000E0B8: BF0A4252
	s_cselect_b32 s20, s36, s60                                // 00000000E0BC: 85143C24
	v_readlane_b32 s82, v3, 11                                 // 00000000E0C0: D2890052 00011703
	s_and_b32 s82, s82, 0xffffff                               // 00000000E0C8: 8652FF52 00FFFFFF
	s_cmp_lt_u32 s82, s66                                      // 00000000E0D0: BF0A4252
	s_cselect_b32 s21, s36, s60                                // 00000000E0D4: 85153C24
	s_mov_b64 exec, s[20:21]                                   // 00000000E0D8: BEFE0114
	global_atomic_add_f32 v6, v147, s[8:9] offset:8            // 00000000E0DC: DD348008 00089306
	global_atomic_add_f32 v6, v151, s[8:9] offset:264          // 00000000E0E4: DD348108 00089706
	s_mov_b64 exec, s[36:37]                                   // 00000000E0EC: BEFE0124
	v_mov_b32_e32 v6, v62                                      // 00000000E0F0: 7E0C033E
	s_mov_b64 s[60:61], 0                                      // 00000000E0F4: BEBC0180
	v_readlane_b32 s82, v3, 12                                 // 00000000E0F8: D2890052 00011903
	s_and_b32 s82, s82, 0xffffff                               // 00000000E100: 8652FF52 00FFFFFF
	s_cmp_lt_u32 s82, s66                                      // 00000000E108: BF0A4252
	s_cselect_b32 s20, s36, s60                                // 00000000E10C: 85143C24
	v_readlane_b32 s82, v3, 13                                 // 00000000E110: D2890052 00011B03
	s_and_b32 s82, s82, 0xffffff                               // 00000000E118: 8652FF52 00FFFFFF
	s_cmp_lt_u32 s82, s66                                      // 00000000E120: BF0A4252
	s_cselect_b32 s21, s36, s60                                // 00000000E124: 85153C24
	s_mov_b64 exec, s[20:21]                                   // 00000000E128: BEFE0114
	global_atomic_add_f32 v6, v154, s[8:9] offset:8            // 00000000E12C: DD348008 00089A06
	global_atomic_add_f32 v6, v158, s[8:9] offset:264          // 00000000E134: DD348108 00089E06
	s_mov_b64 exec, s[36:37]                                   // 00000000E13C: BEFE0124
	v_mov_b32_e32 v6, v63                                      // 00000000E140: 7E0C033F
	s_mov_b64 s[60:61], 0                                      // 00000000E144: BEBC0180
	v_readlane_b32 s82, v3, 14                                 // 00000000E148: D2890052 00011D03
	s_and_b32 s82, s82, 0xffffff                               // 00000000E150: 8652FF52 00FFFFFF
	s_cmp_lt_u32 s82, s66                                      // 00000000E158: BF0A4252
	s_cselect_b32 s20, s36, s60                                // 00000000E15C: 85143C24
	v_readlane_b32 s82, v3, 15                                 // 00000000E160: D2890052 00011F03
	s_and_b32 s82, s82, 0xffffff                               // 00000000E168: 8652FF52 00FFFFFF
	s_cmp_lt_u32 s82, s66                                      // 00000000E170: BF0A4252
	s_cselect_b32 s21, s36, s60                                // 00000000E174: 85153C24
	s_mov_b64 exec, s[20:21]                                   // 00000000E178: BEFE0114
	global_atomic_add_f32 v6, v155, s[8:9] offset:8            // 00000000E17C: DD348008 00089B06
	global_atomic_add_f32 v6, v159, s[8:9] offset:264          // 00000000E184: DD348108 00089F06
	s_mov_b64 exec, s[36:37]                                   // 00000000E18C: BEFE0124
	v_mov_b32_e32 v6, v64                                      // 00000000E190: 7E0C0340
	s_mov_b64 s[60:61], 0                                      // 00000000E194: BEBC0180
	v_readlane_b32 s82, v3, 16                                 // 00000000E198: D2890052 00012103
	s_and_b32 s82, s82, 0xffffff                               // 00000000E1A0: 8652FF52 00FFFFFF
	s_cmp_lt_u32 s82, s66                                      // 00000000E1A8: BF0A4252
	s_cselect_b32 s20, s36, s60                                // 00000000E1AC: 85143C24
	v_readlane_b32 s82, v3, 17                                 // 00000000E1B0: D2890052 00012303
	s_and_b32 s82, s82, 0xffffff                               // 00000000E1B8: 8652FF52 00FFFFFF
	s_cmp_lt_u32 s82, s66                                      // 00000000E1C0: BF0A4252
	s_cselect_b32 s21, s36, s60                                // 00000000E1C4: 85153C24
	s_mov_b64 exec, s[20:21]                                   // 00000000E1C8: BEFE0114
	global_atomic_add_f32 v6, v162, s[8:9] offset:8            // 00000000E1CC: DD348008 0008A206
	global_atomic_add_f32 v6, v166, s[8:9] offset:264          // 00000000E1D4: DD348108 0008A606
	s_mov_b64 exec, s[36:37]                                   // 00000000E1DC: BEFE0124
	v_mov_b32_e32 v6, v65                                      // 00000000E1E0: 7E0C0341
	s_mov_b64 s[60:61], 0                                      // 00000000E1E4: BEBC0180
	v_readlane_b32 s82, v3, 18                                 // 00000000E1E8: D2890052 00012503
	s_and_b32 s82, s82, 0xffffff                               // 00000000E1F0: 8652FF52 00FFFFFF
	s_cmp_lt_u32 s82, s66                                      // 00000000E1F8: BF0A4252
	s_cselect_b32 s20, s36, s60                                // 00000000E1FC: 85143C24
	v_readlane_b32 s82, v3, 19                                 // 00000000E200: D2890052 00012703
	s_and_b32 s82, s82, 0xffffff                               // 00000000E208: 8652FF52 00FFFFFF
	s_cmp_lt_u32 s82, s66                                      // 00000000E210: BF0A4252
	s_cselect_b32 s21, s36, s60                                // 00000000E214: 85153C24
	s_mov_b64 exec, s[20:21]                                   // 00000000E218: BEFE0114
	global_atomic_add_f32 v6, v163, s[8:9] offset:8            // 00000000E21C: DD348008 0008A306
	global_atomic_add_f32 v6, v167, s[8:9] offset:264          // 00000000E224: DD348108 0008A706
	s_mov_b64 exec, s[36:37]                                   // 00000000E22C: BEFE0124
	v_mov_b32_e32 v6, v66                                      // 00000000E230: 7E0C0342
	s_mov_b64 s[60:61], 0                                      // 00000000E234: BEBC0180
	v_readlane_b32 s82, v3, 20                                 // 00000000E238: D2890052 00012903
	s_and_b32 s82, s82, 0xffffff                               // 00000000E240: 8652FF52 00FFFFFF
	s_cmp_lt_u32 s82, s66                                      // 00000000E248: BF0A4252
	s_cselect_b32 s20, s36, s60                                // 00000000E24C: 85143C24
	v_readlane_b32 s82, v3, 21                                 // 00000000E250: D2890052 00012B03
	s_and_b32 s82, s82, 0xffffff                               // 00000000E258: 8652FF52 00FFFFFF
	s_cmp_lt_u32 s82, s66                                      // 00000000E260: BF0A4252
	s_cselect_b32 s21, s36, s60                                // 00000000E264: 85153C24
	s_mov_b64 exec, s[20:21]                                   // 00000000E268: BEFE0114
	global_atomic_add_f32 v6, v170, s[8:9] offset:8            // 00000000E26C: DD348008 0008AA06
	global_atomic_add_f32 v6, v174, s[8:9] offset:264          // 00000000E274: DD348108 0008AE06
	s_mov_b64 exec, s[36:37]                                   // 00000000E27C: BEFE0124
	v_mov_b32_e32 v6, v67                                      // 00000000E280: 7E0C0343
	s_mov_b64 s[60:61], 0                                      // 00000000E284: BEBC0180
	v_readlane_b32 s82, v3, 22                                 // 00000000E288: D2890052 00012D03
	s_and_b32 s82, s82, 0xffffff                               // 00000000E290: 8652FF52 00FFFFFF
	s_cmp_lt_u32 s82, s66                                      // 00000000E298: BF0A4252
	s_cselect_b32 s20, s36, s60                                // 00000000E29C: 85143C24
	v_readlane_b32 s82, v3, 23                                 // 00000000E2A0: D2890052 00012F03
	s_and_b32 s82, s82, 0xffffff                               // 00000000E2A8: 8652FF52 00FFFFFF
	s_cmp_lt_u32 s82, s66                                      // 00000000E2B0: BF0A4252
	s_cselect_b32 s21, s36, s60                                // 00000000E2B4: 85153C24
	s_mov_b64 exec, s[20:21]                                   // 00000000E2B8: BEFE0114
	global_atomic_add_f32 v6, v171, s[8:9] offset:8            // 00000000E2BC: DD348008 0008AB06
	global_atomic_add_f32 v6, v175, s[8:9] offset:264          // 00000000E2C4: DD348108 0008AF06
	s_mov_b64 exec, s[36:37]                                   // 00000000E2CC: BEFE0124
	v_mov_b32_e32 v6, v68                                      // 00000000E2D0: 7E0C0344
	s_mov_b64 s[60:61], 0                                      // 00000000E2D4: BEBC0180
	v_readlane_b32 s82, v3, 24                                 // 00000000E2D8: D2890052 00013103
	s_and_b32 s82, s82, 0xffffff                               // 00000000E2E0: 8652FF52 00FFFFFF
	s_cmp_lt_u32 s82, s66                                      // 00000000E2E8: BF0A4252
	s_cselect_b32 s20, s36, s60                                // 00000000E2EC: 85143C24
	v_readlane_b32 s82, v3, 25                                 // 00000000E2F0: D2890052 00013303
	s_and_b32 s82, s82, 0xffffff                               // 00000000E2F8: 8652FF52 00FFFFFF
	s_cmp_lt_u32 s82, s66                                      // 00000000E300: BF0A4252
	s_cselect_b32 s21, s36, s60                                // 00000000E304: 85153C24
	s_mov_b64 exec, s[20:21]                                   // 00000000E308: BEFE0114
	global_atomic_add_f32 v6, v178, s[8:9] offset:8            // 00000000E30C: DD348008 0008B206
	global_atomic_add_f32 v6, v182, s[8:9] offset:264          // 00000000E314: DD348108 0008B606
	s_mov_b64 exec, s[36:37]                                   // 00000000E31C: BEFE0124
	v_mov_b32_e32 v6, v69                                      // 00000000E320: 7E0C0345
	s_mov_b64 s[60:61], 0                                      // 00000000E324: BEBC0180
	v_readlane_b32 s82, v3, 26                                 // 00000000E328: D2890052 00013503
	s_and_b32 s82, s82, 0xffffff                               // 00000000E330: 8652FF52 00FFFFFF
	s_cmp_lt_u32 s82, s66                                      // 00000000E338: BF0A4252
	s_cselect_b32 s20, s36, s60                                // 00000000E33C: 85143C24
	v_readlane_b32 s82, v3, 27                                 // 00000000E340: D2890052 00013703
	s_and_b32 s82, s82, 0xffffff                               // 00000000E348: 8652FF52 00FFFFFF
	s_cmp_lt_u32 s82, s66                                      // 00000000E350: BF0A4252
	s_cselect_b32 s21, s36, s60                                // 00000000E354: 85153C24
	s_mov_b64 exec, s[20:21]                                   // 00000000E358: BEFE0114
	global_atomic_add_f32 v6, v179, s[8:9] offset:8            // 00000000E35C: DD348008 0008B306
	global_atomic_add_f32 v6, v183, s[8:9] offset:264          // 00000000E364: DD348108 0008B706
	s_mov_b64 exec, s[36:37]                                   // 00000000E36C: BEFE0124
	s_branch label_2E60                                        // 00000000E370: BF820000

000000000000e374 <label_2E60>:
	s_waitcnt vmcnt(0) expcnt(0) lgkmcnt(0)                    // 00000000E374: BF8C0000
	s_endpgm                                                   // 00000000E378: BF810000
